;; amdgpu-corpus repo=ROCm/rocFFT kind=compiled arch=gfx906 opt=O3
	.text
	.amdgcn_target "amdgcn-amd-amdhsa--gfx906"
	.amdhsa_code_object_version 6
	.protected	fft_rtc_back_len4000_factors_10_10_10_4_wgs_200_tpt_200_halfLds_sp_ip_CI_unitstride_sbrr_dirReg ; -- Begin function fft_rtc_back_len4000_factors_10_10_10_4_wgs_200_tpt_200_halfLds_sp_ip_CI_unitstride_sbrr_dirReg
	.globl	fft_rtc_back_len4000_factors_10_10_10_4_wgs_200_tpt_200_halfLds_sp_ip_CI_unitstride_sbrr_dirReg
	.p2align	8
	.type	fft_rtc_back_len4000_factors_10_10_10_4_wgs_200_tpt_200_halfLds_sp_ip_CI_unitstride_sbrr_dirReg,@function
fft_rtc_back_len4000_factors_10_10_10_4_wgs_200_tpt_200_halfLds_sp_ip_CI_unitstride_sbrr_dirReg: ; @fft_rtc_back_len4000_factors_10_10_10_4_wgs_200_tpt_200_halfLds_sp_ip_CI_unitstride_sbrr_dirReg
; %bb.0:
	s_load_dwordx2 s[2:3], s[4:5], 0x50
	s_load_dwordx4 s[8:11], s[4:5], 0x0
	s_load_dwordx2 s[12:13], s[4:5], 0x18
	v_mul_u32_u24_e32 v1, 0x148, v0
	v_add_u32_sdwa v5, s6, v1 dst_sel:DWORD dst_unused:UNUSED_PAD src0_sel:DWORD src1_sel:WORD_1
	v_mov_b32_e32 v3, 0
	s_waitcnt lgkmcnt(0)
	v_cmp_lt_u64_e64 s[0:1], s[10:11], 2
	v_mov_b32_e32 v1, 0
	v_mov_b32_e32 v6, v3
	s_and_b64 vcc, exec, s[0:1]
	v_mov_b32_e32 v2, 0
	s_cbranch_vccnz .LBB0_8
; %bb.1:
	s_load_dwordx2 s[0:1], s[4:5], 0x10
	s_add_u32 s6, s12, 8
	s_addc_u32 s7, s13, 0
	v_mov_b32_e32 v1, 0
	v_mov_b32_e32 v2, 0
	s_waitcnt lgkmcnt(0)
	s_add_u32 s14, s0, 8
	s_addc_u32 s15, s1, 0
	s_mov_b64 s[16:17], 1
.LBB0_2:                                ; =>This Inner Loop Header: Depth=1
	s_load_dwordx2 s[18:19], s[14:15], 0x0
                                        ; implicit-def: $vgpr7_vgpr8
	s_waitcnt lgkmcnt(0)
	v_or_b32_e32 v4, s19, v6
	v_cmp_ne_u64_e32 vcc, 0, v[3:4]
	s_and_saveexec_b64 s[0:1], vcc
	s_xor_b64 s[20:21], exec, s[0:1]
	s_cbranch_execz .LBB0_4
; %bb.3:                                ;   in Loop: Header=BB0_2 Depth=1
	v_cvt_f32_u32_e32 v4, s18
	v_cvt_f32_u32_e32 v7, s19
	s_sub_u32 s0, 0, s18
	s_subb_u32 s1, 0, s19
	v_mac_f32_e32 v4, 0x4f800000, v7
	v_rcp_f32_e32 v4, v4
	v_mul_f32_e32 v4, 0x5f7ffffc, v4
	v_mul_f32_e32 v7, 0x2f800000, v4
	v_trunc_f32_e32 v7, v7
	v_mac_f32_e32 v4, 0xcf800000, v7
	v_cvt_u32_f32_e32 v7, v7
	v_cvt_u32_f32_e32 v4, v4
	v_mul_lo_u32 v8, s0, v7
	v_mul_hi_u32 v9, s0, v4
	v_mul_lo_u32 v11, s1, v4
	v_mul_lo_u32 v10, s0, v4
	v_add_u32_e32 v8, v9, v8
	v_add_u32_e32 v8, v8, v11
	v_mul_hi_u32 v9, v4, v10
	v_mul_lo_u32 v11, v4, v8
	v_mul_hi_u32 v13, v4, v8
	v_mul_hi_u32 v12, v7, v10
	v_mul_lo_u32 v10, v7, v10
	v_mul_hi_u32 v14, v7, v8
	v_add_co_u32_e32 v9, vcc, v9, v11
	v_addc_co_u32_e32 v11, vcc, 0, v13, vcc
	v_mul_lo_u32 v8, v7, v8
	v_add_co_u32_e32 v9, vcc, v9, v10
	v_addc_co_u32_e32 v9, vcc, v11, v12, vcc
	v_addc_co_u32_e32 v10, vcc, 0, v14, vcc
	v_add_co_u32_e32 v8, vcc, v9, v8
	v_addc_co_u32_e32 v9, vcc, 0, v10, vcc
	v_add_co_u32_e32 v4, vcc, v4, v8
	v_addc_co_u32_e32 v7, vcc, v7, v9, vcc
	v_mul_lo_u32 v8, s0, v7
	v_mul_hi_u32 v9, s0, v4
	v_mul_lo_u32 v10, s1, v4
	v_mul_lo_u32 v11, s0, v4
	v_add_u32_e32 v8, v9, v8
	v_add_u32_e32 v8, v8, v10
	v_mul_lo_u32 v12, v4, v8
	v_mul_hi_u32 v13, v4, v11
	v_mul_hi_u32 v14, v4, v8
	;; [unrolled: 1-line block ×3, first 2 shown]
	v_mul_lo_u32 v11, v7, v11
	v_mul_hi_u32 v9, v7, v8
	v_add_co_u32_e32 v12, vcc, v13, v12
	v_addc_co_u32_e32 v13, vcc, 0, v14, vcc
	v_mul_lo_u32 v8, v7, v8
	v_add_co_u32_e32 v11, vcc, v12, v11
	v_addc_co_u32_e32 v10, vcc, v13, v10, vcc
	v_addc_co_u32_e32 v9, vcc, 0, v9, vcc
	v_add_co_u32_e32 v8, vcc, v10, v8
	v_addc_co_u32_e32 v9, vcc, 0, v9, vcc
	v_add_co_u32_e32 v4, vcc, v4, v8
	v_addc_co_u32_e32 v9, vcc, v7, v9, vcc
	v_mad_u64_u32 v[7:8], s[0:1], v5, v9, 0
	v_mul_hi_u32 v10, v5, v4
	v_add_co_u32_e32 v11, vcc, v10, v7
	v_addc_co_u32_e32 v12, vcc, 0, v8, vcc
	v_mad_u64_u32 v[7:8], s[0:1], v6, v4, 0
	v_mad_u64_u32 v[9:10], s[0:1], v6, v9, 0
	v_add_co_u32_e32 v4, vcc, v11, v7
	v_addc_co_u32_e32 v4, vcc, v12, v8, vcc
	v_addc_co_u32_e32 v7, vcc, 0, v10, vcc
	v_add_co_u32_e32 v4, vcc, v4, v9
	v_addc_co_u32_e32 v9, vcc, 0, v7, vcc
	v_mul_lo_u32 v10, s19, v4
	v_mul_lo_u32 v11, s18, v9
	v_mad_u64_u32 v[7:8], s[0:1], s18, v4, 0
	v_add3_u32 v8, v8, v11, v10
	v_sub_u32_e32 v10, v6, v8
	v_mov_b32_e32 v11, s19
	v_sub_co_u32_e32 v7, vcc, v5, v7
	v_subb_co_u32_e64 v10, s[0:1], v10, v11, vcc
	v_subrev_co_u32_e64 v11, s[0:1], s18, v7
	v_subbrev_co_u32_e64 v10, s[0:1], 0, v10, s[0:1]
	v_cmp_le_u32_e64 s[0:1], s19, v10
	v_cndmask_b32_e64 v12, 0, -1, s[0:1]
	v_cmp_le_u32_e64 s[0:1], s18, v11
	v_cndmask_b32_e64 v11, 0, -1, s[0:1]
	v_cmp_eq_u32_e64 s[0:1], s19, v10
	v_cndmask_b32_e64 v10, v12, v11, s[0:1]
	v_add_co_u32_e64 v11, s[0:1], 2, v4
	v_addc_co_u32_e64 v12, s[0:1], 0, v9, s[0:1]
	v_add_co_u32_e64 v13, s[0:1], 1, v4
	v_addc_co_u32_e64 v14, s[0:1], 0, v9, s[0:1]
	v_subb_co_u32_e32 v8, vcc, v6, v8, vcc
	v_cmp_ne_u32_e64 s[0:1], 0, v10
	v_cmp_le_u32_e32 vcc, s19, v8
	v_cndmask_b32_e64 v10, v14, v12, s[0:1]
	v_cndmask_b32_e64 v12, 0, -1, vcc
	v_cmp_le_u32_e32 vcc, s18, v7
	v_cndmask_b32_e64 v7, 0, -1, vcc
	v_cmp_eq_u32_e32 vcc, s19, v8
	v_cndmask_b32_e32 v7, v12, v7, vcc
	v_cmp_ne_u32_e32 vcc, 0, v7
	v_cndmask_b32_e64 v7, v13, v11, s[0:1]
	v_cndmask_b32_e32 v8, v9, v10, vcc
	v_cndmask_b32_e32 v7, v4, v7, vcc
.LBB0_4:                                ;   in Loop: Header=BB0_2 Depth=1
	s_andn2_saveexec_b64 s[0:1], s[20:21]
	s_cbranch_execz .LBB0_6
; %bb.5:                                ;   in Loop: Header=BB0_2 Depth=1
	v_cvt_f32_u32_e32 v4, s18
	s_sub_i32 s20, 0, s18
	v_rcp_iflag_f32_e32 v4, v4
	v_mul_f32_e32 v4, 0x4f7ffffe, v4
	v_cvt_u32_f32_e32 v4, v4
	v_mul_lo_u32 v7, s20, v4
	v_mul_hi_u32 v7, v4, v7
	v_add_u32_e32 v4, v4, v7
	v_mul_hi_u32 v4, v5, v4
	v_mul_lo_u32 v7, v4, s18
	v_add_u32_e32 v8, 1, v4
	v_sub_u32_e32 v7, v5, v7
	v_subrev_u32_e32 v9, s18, v7
	v_cmp_le_u32_e32 vcc, s18, v7
	v_cndmask_b32_e32 v7, v7, v9, vcc
	v_cndmask_b32_e32 v4, v4, v8, vcc
	v_add_u32_e32 v8, 1, v4
	v_cmp_le_u32_e32 vcc, s18, v7
	v_cndmask_b32_e32 v7, v4, v8, vcc
	v_mov_b32_e32 v8, v3
.LBB0_6:                                ;   in Loop: Header=BB0_2 Depth=1
	s_or_b64 exec, exec, s[0:1]
	v_mul_lo_u32 v4, v8, s18
	v_mul_lo_u32 v11, v7, s19
	v_mad_u64_u32 v[9:10], s[0:1], v7, s18, 0
	s_load_dwordx2 s[0:1], s[6:7], 0x0
	s_add_u32 s16, s16, 1
	v_add3_u32 v4, v10, v11, v4
	v_sub_co_u32_e32 v5, vcc, v5, v9
	v_subb_co_u32_e32 v4, vcc, v6, v4, vcc
	s_waitcnt lgkmcnt(0)
	v_mul_lo_u32 v4, s0, v4
	v_mul_lo_u32 v6, s1, v5
	v_mad_u64_u32 v[1:2], s[0:1], s0, v5, v[1:2]
	s_addc_u32 s17, s17, 0
	s_add_u32 s6, s6, 8
	v_add3_u32 v2, v6, v2, v4
	v_mov_b32_e32 v4, s10
	v_mov_b32_e32 v5, s11
	s_addc_u32 s7, s7, 0
	v_cmp_ge_u64_e32 vcc, s[16:17], v[4:5]
	s_add_u32 s14, s14, 8
	s_addc_u32 s15, s15, 0
	s_cbranch_vccnz .LBB0_9
; %bb.7:                                ;   in Loop: Header=BB0_2 Depth=1
	v_mov_b32_e32 v5, v7
	v_mov_b32_e32 v6, v8
	s_branch .LBB0_2
.LBB0_8:
	v_mov_b32_e32 v8, v6
	v_mov_b32_e32 v7, v5
.LBB0_9:
	s_lshl_b64 s[0:1], s[10:11], 3
	s_add_u32 s0, s12, s0
	s_addc_u32 s1, s13, s1
	s_load_dwordx2 s[6:7], s[0:1], 0x0
	s_load_dwordx2 s[10:11], s[4:5], 0x20
                                        ; implicit-def: $vgpr10
                                        ; implicit-def: $vgpr36
                                        ; implicit-def: $vgpr40
                                        ; implicit-def: $vgpr12
                                        ; implicit-def: $vgpr38
                                        ; implicit-def: $vgpr42
                                        ; implicit-def: $vgpr16
                                        ; implicit-def: $vgpr18
                                        ; implicit-def: $vgpr28
                                        ; implicit-def: $vgpr20
                                        ; implicit-def: $vgpr30
                                        ; implicit-def: $vgpr32
                                        ; implicit-def: $vgpr24
                                        ; implicit-def: $vgpr45
                                        ; implicit-def: $vgpr26
                                        ; implicit-def: $vgpr22
                                        ; implicit-def: $vgpr34
                                        ; implicit-def: $vgpr14
	s_waitcnt lgkmcnt(0)
	v_mad_u64_u32 v[1:2], s[0:1], s6, v7, v[1:2]
	v_mul_lo_u32 v3, s6, v8
	v_mul_lo_u32 v4, s7, v7
	s_mov_b32 s0, 0x147ae15
	v_mul_hi_u32 v5, v0, s0
	v_cmp_gt_u64_e64 s[0:1], s[10:11], v[7:8]
	v_add3_u32 v2, v4, v2, v3
	v_lshlrev_b64 v[2:3], 3, v[1:2]
	v_mul_u32_u24_e32 v4, 0xc8, v5
	v_sub_u32_e32 v0, v0, v4
                                        ; implicit-def: $vgpr7
                                        ; implicit-def: $vgpr5
	s_and_saveexec_b64 s[4:5], s[0:1]
	s_cbranch_execz .LBB0_11
; %bb.10:
	v_mov_b32_e32 v1, 0
	v_mov_b32_e32 v4, s3
	v_add_co_u32_e32 v6, vcc, s2, v2
	v_addc_co_u32_e32 v7, vcc, v4, v3, vcc
	v_lshlrev_b64 v[4:5], 3, v[0:1]
	s_movk_i32 s6, 0x1000
	v_add_co_u32_e32 v15, vcc, v6, v4
	v_addc_co_u32_e32 v16, vcc, v7, v5, vcc
	v_add_co_u32_e32 v25, vcc, s6, v15
	v_addc_co_u32_e32 v26, vcc, 0, v16, vcc
	s_movk_i32 s6, 0x2000
	v_add_co_u32_e32 v31, vcc, s6, v15
	v_addc_co_u32_e32 v32, vcc, 0, v16, vcc
	s_movk_i32 s6, 0x3000
	;; [unrolled: 3-line block ×6, first 2 shown]
	v_add_co_u32_e32 v50, vcc, s6, v15
	v_addc_co_u32_e32 v51, vcc, 0, v16, vcc
	global_load_dwordx2 v[9:10], v[15:16], off
	global_load_dwordx2 v[4:5], v[25:26], off offset:704
	global_load_dwordx2 v[6:7], v[15:16], off offset:3200
	;; [unrolled: 1-line block ×14, first 2 shown]
                                        ; kill: killed $vgpr43 killed $vgpr44
                                        ; kill: killed $vgpr41 killed $vgpr42
                                        ; kill: killed $vgpr15 killed $vgpr16
                                        ; kill: killed $vgpr25 killed $vgpr26
                                        ; kill: killed $vgpr31 killed $vgpr32
	global_load_dwordx2 v[31:32], v[46:47], off offset:320
	s_nop 0
	global_load_dwordx2 v[41:42], v[48:49], off offset:1024
	global_load_dwordx2 v[25:26], v[50:51], off offset:1728
	;; [unrolled: 1-line block ×4, first 2 shown]
.LBB0_11:
	s_or_b64 exec, exec, s[4:5]
	s_waitcnt vmcnt(10)
	v_add_f32_e32 v8, v39, v37
	v_fma_f32 v8, -0.5, v8, v9
	s_waitcnt vmcnt(3)
	v_sub_f32_e32 v43, v36, v42
	v_mov_b32_e32 v46, v8
	v_fmac_f32_e32 v46, 0xbf737871, v43
	v_sub_f32_e32 v47, v40, v38
	v_sub_f32_e32 v48, v35, v39
	;; [unrolled: 1-line block ×3, first 2 shown]
	v_fmac_f32_e32 v8, 0x3f737871, v43
	v_fmac_f32_e32 v46, 0xbf167918, v47
	v_add_f32_e32 v48, v48, v49
	v_fmac_f32_e32 v8, 0x3f167918, v47
	v_fmac_f32_e32 v46, 0x3e9e377a, v48
	;; [unrolled: 1-line block ×3, first 2 shown]
	v_add_f32_e32 v48, v35, v41
	v_add_f32_e32 v1, v9, v35
	v_fmac_f32_e32 v9, -0.5, v48
	v_mov_b32_e32 v48, v9
	v_fmac_f32_e32 v48, 0x3f737871, v47
	v_fmac_f32_e32 v9, 0xbf737871, v47
	;; [unrolled: 1-line block ×4, first 2 shown]
	v_add_f32_e32 v43, v10, v36
	v_add_f32_e32 v43, v43, v40
	v_sub_f32_e32 v49, v39, v35
	v_sub_f32_e32 v50, v37, v41
	v_add_f32_e32 v43, v43, v38
	v_add_f32_e32 v49, v49, v50
	;; [unrolled: 1-line block ×5, first 2 shown]
	v_fmac_f32_e32 v48, 0x3e9e377a, v49
	v_fmac_f32_e32 v9, 0x3e9e377a, v49
	v_fma_f32 v49, -0.5, v43, v10
	v_add_f32_e32 v1, v1, v37
	v_sub_f32_e32 v35, v35, v41
	v_mov_b32_e32 v50, v49
	v_add_f32_e32 v1, v1, v41
	v_fmac_f32_e32 v50, 0x3f737871, v35
	v_sub_f32_e32 v37, v39, v37
	v_sub_f32_e32 v39, v36, v40
	v_sub_f32_e32 v41, v42, v38
	v_fmac_f32_e32 v49, 0xbf737871, v35
	v_fmac_f32_e32 v50, 0x3f167918, v37
	v_add_f32_e32 v39, v39, v41
	v_fmac_f32_e32 v49, 0xbf167918, v37
	v_fmac_f32_e32 v50, 0x3e9e377a, v39
	;; [unrolled: 1-line block ×3, first 2 shown]
	v_add_f32_e32 v39, v36, v42
	v_fmac_f32_e32 v10, -0.5, v39
	v_mov_b32_e32 v51, v10
	v_fmac_f32_e32 v51, 0xbf737871, v37
	v_fmac_f32_e32 v10, 0x3f737871, v37
	;; [unrolled: 1-line block ×4, first 2 shown]
	v_add_f32_e32 v35, v6, v13
	v_add_f32_e32 v35, v11, v35
	;; [unrolled: 1-line block ×3, first 2 shown]
	v_sub_f32_e32 v36, v40, v36
	v_sub_f32_e32 v38, v38, v42
	s_waitcnt vmcnt(1)
	v_add_f32_e32 v37, v15, v35
	v_add_f32_e32 v35, v11, v33
	;; [unrolled: 1-line block ×3, first 2 shown]
	v_fma_f32 v38, -0.5, v35, v6
	v_sub_f32_e32 v35, v14, v16
	v_mov_b32_e32 v39, v38
	v_fmac_f32_e32 v51, 0x3e9e377a, v36
	v_fmac_f32_e32 v10, 0x3e9e377a, v36
	;; [unrolled: 1-line block ×3, first 2 shown]
	v_sub_f32_e32 v36, v12, v34
	v_sub_f32_e32 v40, v13, v11
	;; [unrolled: 1-line block ×3, first 2 shown]
	v_fmac_f32_e32 v38, 0x3f737871, v35
	v_fmac_f32_e32 v39, 0xbf167918, v36
	v_add_f32_e32 v40, v41, v40
	v_fmac_f32_e32 v38, 0x3f167918, v36
	v_fmac_f32_e32 v39, 0x3e9e377a, v40
	;; [unrolled: 1-line block ×3, first 2 shown]
	v_add_f32_e32 v40, v15, v13
	v_fmac_f32_e32 v6, -0.5, v40
	v_mov_b32_e32 v40, v6
	v_fmac_f32_e32 v40, 0x3f737871, v36
	v_fmac_f32_e32 v6, 0xbf737871, v36
	;; [unrolled: 1-line block ×4, first 2 shown]
	v_add_f32_e32 v35, v7, v14
	v_add_f32_e32 v35, v12, v35
	v_sub_f32_e32 v41, v11, v13
	v_sub_f32_e32 v42, v33, v15
	v_add_f32_e32 v35, v34, v35
	v_add_f32_e32 v41, v42, v41
	;; [unrolled: 1-line block ×4, first 2 shown]
	v_fmac_f32_e32 v40, 0x3e9e377a, v41
	v_fmac_f32_e32 v6, 0x3e9e377a, v41
	v_fma_f32 v41, -0.5, v35, v7
	v_sub_f32_e32 v13, v13, v15
	v_mov_b32_e32 v15, v41
	v_fmac_f32_e32 v15, 0x3f737871, v13
	v_sub_f32_e32 v11, v11, v33
	v_sub_f32_e32 v33, v14, v12
	;; [unrolled: 1-line block ×3, first 2 shown]
	v_fmac_f32_e32 v41, 0xbf737871, v13
	v_fmac_f32_e32 v15, 0x3f167918, v11
	v_add_f32_e32 v33, v35, v33
	v_fmac_f32_e32 v41, 0xbf167918, v11
	v_fmac_f32_e32 v15, 0x3e9e377a, v33
	;; [unrolled: 1-line block ×3, first 2 shown]
	v_add_f32_e32 v33, v16, v14
	v_fmac_f32_e32 v7, -0.5, v33
	v_mov_b32_e32 v33, v7
	v_fmac_f32_e32 v33, 0xbf737871, v11
	v_sub_f32_e32 v12, v12, v14
	v_sub_f32_e32 v14, v34, v16
	v_fmac_f32_e32 v33, 0x3f167918, v13
	v_add_f32_e32 v12, v14, v12
	v_fmac_f32_e32 v33, 0x3e9e377a, v12
	v_fmac_f32_e32 v7, 0x3f737871, v11
	v_mul_f32_e32 v16, 0xbf737871, v33
	v_fmac_f32_e32 v7, 0xbf167918, v13
	v_mul_f32_e32 v11, 0xbf167918, v15
	;; [unrolled: 2-line block ×3, first 2 shown]
	v_fmac_f32_e32 v7, 0x3e9e377a, v12
	v_fmac_f32_e32 v11, 0x3f4f1bbd, v39
	v_add_f32_e32 v42, v48, v16
	v_mul_f32_e32 v54, 0xbf167918, v41
	v_fmac_f32_e32 v55, 0x3f167918, v39
	v_mul_f32_e32 v56, 0x3f737871, v40
	v_mul_f32_e32 v57, 0xbf4f1bbd, v41
	v_sub_f32_e32 v39, v48, v16
	v_add_f32_e32 v16, v29, v31
	v_add_f32_e32 v35, v46, v11
	v_fmac_f32_e32 v54, 0xbf4f1bbd, v38
	v_fmac_f32_e32 v56, 0x3e9e377a, v33
	v_mul_f32_e32 v33, 0xbe9e377a, v7
	v_fmac_f32_e32 v57, 0x3f167918, v38
	v_sub_f32_e32 v38, v46, v11
	v_fma_f32 v46, -0.5, v16, v17
	v_mul_f32_e32 v53, 0xbf737871, v7
	v_add_f32_e32 v12, v47, v52
	v_fmac_f32_e32 v33, 0x3f737871, v6
	v_sub_f32_e32 v7, v47, v52
	s_waitcnt vmcnt(0)
	v_sub_f32_e32 v16, v28, v45
	v_mov_b32_e32 v47, v46
	v_fmac_f32_e32 v53, 0xbe9e377a, v6
	v_add_f32_e32 v15, v10, v33
	v_add_f32_e32 v6, v49, v57
	v_sub_f32_e32 v10, v10, v33
	v_sub_f32_e32 v11, v49, v57
	v_fmac_f32_e32 v47, 0xbf737871, v16
	v_sub_f32_e32 v33, v30, v32
	v_sub_f32_e32 v48, v27, v29
	;; [unrolled: 1-line block ×3, first 2 shown]
	v_fmac_f32_e32 v46, 0x3f737871, v16
	v_fmac_f32_e32 v47, 0xbf167918, v33
	v_add_f32_e32 v48, v48, v49
	v_fmac_f32_e32 v46, 0x3f167918, v33
	v_fmac_f32_e32 v47, 0x3e9e377a, v48
	;; [unrolled: 1-line block ×3, first 2 shown]
	v_add_f32_e32 v48, v27, v44
	v_add_f32_e32 v34, v1, v37
	v_sub_f32_e32 v37, v1, v37
	v_add_f32_e32 v1, v17, v27
	v_fmac_f32_e32 v17, -0.5, v48
	v_mov_b32_e32 v48, v17
	v_fmac_f32_e32 v48, 0x3f737871, v33
	v_fmac_f32_e32 v17, 0xbf737871, v33
	;; [unrolled: 1-line block ×4, first 2 shown]
	v_add_f32_e32 v16, v18, v28
	v_add_f32_e32 v36, v8, v54
	;; [unrolled: 1-line block ×3, first 2 shown]
	v_sub_f32_e32 v41, v8, v54
	v_sub_f32_e32 v8, v50, v55
	;; [unrolled: 1-line block ×4, first 2 shown]
	v_add_f32_e32 v16, v16, v30
	v_add_f32_e32 v49, v49, v50
	;; [unrolled: 1-line block ×4, first 2 shown]
	v_fmac_f32_e32 v48, 0x3e9e377a, v49
	v_fmac_f32_e32 v17, 0x3e9e377a, v49
	v_add_f32_e32 v49, v16, v45
	v_add_f32_e32 v16, v30, v32
	;; [unrolled: 1-line block ×3, first 2 shown]
	v_fma_f32 v50, -0.5, v16, v18
	v_add_f32_e32 v1, v1, v44
	v_sub_f32_e32 v16, v27, v44
	v_mov_b32_e32 v44, v50
	v_fmac_f32_e32 v44, 0x3f737871, v16
	v_sub_f32_e32 v27, v29, v31
	v_sub_f32_e32 v29, v28, v30
	;; [unrolled: 1-line block ×3, first 2 shown]
	v_fmac_f32_e32 v50, 0xbf737871, v16
	v_fmac_f32_e32 v44, 0x3f167918, v27
	v_add_f32_e32 v29, v29, v31
	v_fmac_f32_e32 v50, 0xbf167918, v27
	v_fmac_f32_e32 v44, 0x3e9e377a, v29
	;; [unrolled: 1-line block ×3, first 2 shown]
	v_add_f32_e32 v29, v28, v45
	v_fmac_f32_e32 v18, -0.5, v29
	v_add_f32_e32 v43, v9, v53
	v_add_f32_e32 v14, v51, v56
	v_sub_f32_e32 v40, v9, v53
	v_sub_f32_e32 v9, v51, v56
	v_mov_b32_e32 v51, v18
	v_fmac_f32_e32 v51, 0xbf737871, v27
	v_fmac_f32_e32 v18, 0x3f737871, v27
	;; [unrolled: 1-line block ×4, first 2 shown]
	v_add_f32_e32 v16, v19, v4
	v_add_f32_e32 v16, v21, v16
	;; [unrolled: 1-line block ×3, first 2 shown]
	v_sub_f32_e32 v28, v30, v28
	v_sub_f32_e32 v29, v32, v45
	v_add_f32_e32 v27, v25, v16
	v_add_f32_e32 v16, v23, v21
	;; [unrolled: 1-line block ×3, first 2 shown]
	v_fma_f32 v16, -0.5, v16, v4
	v_fmac_f32_e32 v51, 0x3e9e377a, v28
	v_fmac_f32_e32 v18, 0x3e9e377a, v28
	v_sub_f32_e32 v28, v20, v26
	v_mov_b32_e32 v29, v16
	v_fmac_f32_e32 v29, 0xbf737871, v28
	v_sub_f32_e32 v30, v22, v24
	v_sub_f32_e32 v31, v19, v21
	;; [unrolled: 1-line block ×3, first 2 shown]
	v_fmac_f32_e32 v16, 0x3f737871, v28
	v_fmac_f32_e32 v29, 0xbf167918, v30
	v_add_f32_e32 v31, v32, v31
	v_fmac_f32_e32 v16, 0x3f167918, v30
	v_fmac_f32_e32 v29, 0x3e9e377a, v31
	;; [unrolled: 1-line block ×3, first 2 shown]
	v_add_f32_e32 v31, v19, v25
	v_fmac_f32_e32 v4, -0.5, v31
	v_mov_b32_e32 v45, v4
	v_fmac_f32_e32 v45, 0x3f737871, v30
	v_fmac_f32_e32 v4, 0xbf737871, v30
	;; [unrolled: 1-line block ×4, first 2 shown]
	v_add_f32_e32 v28, v20, v5
	v_add_f32_e32 v28, v22, v28
	;; [unrolled: 1-line block ×5, first 2 shown]
	v_fma_f32 v28, -0.5, v28, v5
	v_sub_f32_e32 v31, v21, v19
	v_sub_f32_e32 v32, v23, v25
	;; [unrolled: 1-line block ×3, first 2 shown]
	v_mov_b32_e32 v25, v28
	v_fmac_f32_e32 v25, 0x3f737871, v19
	v_sub_f32_e32 v21, v21, v23
	v_sub_f32_e32 v23, v20, v22
	;; [unrolled: 1-line block ×3, first 2 shown]
	v_fmac_f32_e32 v28, 0xbf737871, v19
	v_fmac_f32_e32 v25, 0x3f167918, v21
	v_add_f32_e32 v23, v30, v23
	v_fmac_f32_e32 v28, 0xbf167918, v21
	v_fmac_f32_e32 v25, 0x3e9e377a, v23
	v_fmac_f32_e32 v28, 0x3e9e377a, v23
	v_add_f32_e32 v23, v20, v26
	v_fmac_f32_e32 v5, -0.5, v23
	v_mov_b32_e32 v53, v5
	v_fmac_f32_e32 v53, 0xbf737871, v21
	v_sub_f32_e32 v20, v22, v20
	v_sub_f32_e32 v22, v24, v26
	v_fmac_f32_e32 v53, 0x3f167918, v19
	v_add_f32_e32 v20, v22, v20
	v_fmac_f32_e32 v5, 0x3f737871, v21
	v_add_f32_e32 v31, v32, v31
	v_fmac_f32_e32 v53, 0x3e9e377a, v20
	v_fmac_f32_e32 v5, 0xbf167918, v19
	;; [unrolled: 1-line block ×4, first 2 shown]
	v_mul_f32_e32 v20, 0xbf737871, v53
	v_fmac_f32_e32 v20, 0x3e9e377a, v45
	v_mul_f32_e32 v45, 0x3f737871, v45
	v_fmac_f32_e32 v4, 0x3e9e377a, v31
	v_fmac_f32_e32 v45, 0x3e9e377a, v53
	v_mul_f32_e32 v53, 0xbe9e377a, v5
	v_add_f32_e32 v30, v1, v27
	v_mul_f32_e32 v55, 0x3f167918, v29
	v_fmac_f32_e32 v53, 0x3f737871, v4
	v_sub_f32_e32 v27, v1, v27
	v_mul_u32_u24_e32 v1, 10, v0
	v_mul_f32_e32 v19, 0xbf167918, v25
	v_mul_f32_e32 v21, 0xbf737871, v5
	;; [unrolled: 1-line block ×3, first 2 shown]
	v_fmac_f32_e32 v55, 0x3f4f1bbd, v25
	v_add_f32_e32 v25, v18, v53
	v_mul_f32_e32 v56, 0xbf4f1bbd, v28
	v_sub_f32_e32 v18, v18, v53
	v_lshl_add_u32 v53, v1, 2, 0
	s_movk_i32 s4, 0xffdc
	v_fmac_f32_e32 v19, 0x3f4f1bbd, v29
	v_fmac_f32_e32 v21, 0xbe9e377a, v4
	v_fmac_f32_e32 v54, 0xbf4f1bbd, v16
	v_fmac_f32_e32 v56, 0x3f167918, v16
	v_mad_i32_i24 v1, v0, s4, v53
	v_add_f32_e32 v31, v47, v19
	v_add_f32_e32 v32, v48, v20
	;; [unrolled: 1-line block ×8, first 2 shown]
	v_sub_f32_e32 v28, v47, v19
	v_sub_f32_e32 v29, v48, v20
	;; [unrolled: 1-line block ×8, first 2 shown]
	v_add_u32_e32 v54, 0x1f40, v53
	v_add_u32_e32 v55, 0x1f50, v53
	;; [unrolled: 1-line block ×11, first 2 shown]
	s_movk_i32 s4, 0xcd
	ds_write2_b64 v53, v[34:35], v[42:43] offset1:1
	ds_write2_b64 v53, v[36:37], v[38:39] offset0:2 offset1:3
	ds_write_b64 v53, v[40:41] offset:32
	ds_write2_b64 v54, v[30:31], v[32:33] offset1:1
	ds_write2_b64 v55, v[26:27], v[28:29] offset1:1
	ds_write_b64 v53, v[4:5] offset:8032
	s_waitcnt lgkmcnt(0)
	s_barrier
	ds_read2_b32 v[4:5], v1 offset1:200
	ds_read2_b32 v[42:43], v52 offset0:16 offset1:216
	ds_read2_b32 v[40:41], v47 offset0:32 offset1:232
	;; [unrolled: 1-line block ×3, first 2 shown]
	ds_read2_b32 v[36:37], v48 offset1:200
	ds_read2_b32 v[26:27], v44 offset0:16 offset1:216
	ds_read2_b32 v[28:29], v49 offset0:32 offset1:232
	;; [unrolled: 1-line block ×3, first 2 shown]
	ds_read2_b32 v[32:33], v46 offset1:200
	ds_read2_b32 v[34:35], v51 offset0:16 offset1:216
	s_waitcnt lgkmcnt(0)
	s_barrier
	ds_write2_b64 v53, v[12:13], v[14:15] offset1:1
	ds_write2_b64 v53, v[6:7], v[8:9] offset0:2 offset1:3
	ds_write_b64 v53, v[10:11] offset:32
	ds_write2_b64 v54, v[22:23], v[24:25] offset1:1
	ds_write2_b64 v55, v[16:17], v[20:21] offset1:1
	ds_write_b64 v53, v[18:19] offset:8032
	v_mul_lo_u16_sdwa v6, v0, s4 dst_sel:DWORD dst_unused:UNUSED_PAD src0_sel:BYTE_0 src1_sel:DWORD
	v_lshrrev_b16_e32 v12, 11, v6
	v_mul_lo_u16_e32 v6, 10, v12
	v_sub_u16_e32 v11, v0, v6
	v_mov_b32_e32 v6, 9
	v_mul_u32_u24_sdwa v6, v11, v6 dst_sel:DWORD dst_unused:UNUSED_PAD src0_sel:BYTE_0 src1_sel:DWORD
	v_lshlrev_b32_e32 v6, 3, v6
	s_waitcnt lgkmcnt(0)
	s_barrier
	global_load_dwordx4 v[13:16], v6, s[8:9]
	v_add_u32_e32 v8, 0xc8, v0
	s_mov_b32 s4, 0xcccd
	v_mul_u32_u24_sdwa v7, v8, s4 dst_sel:DWORD dst_unused:UNUSED_PAD src0_sel:WORD_0 src1_sel:DWORD
	v_lshrrev_b32_e32 v9, 19, v7
	v_mul_lo_u16_e32 v7, 10, v9
	v_sub_u16_e32 v10, v8, v7
	v_mul_u32_u24_e32 v7, 9, v10
	v_lshlrev_b32_e32 v19, 3, v7
	global_load_dwordx4 v[21:24], v19, s[8:9]
	global_load_dwordx4 v[53:56], v6, s[8:9] offset:16
	global_load_dwordx4 v[57:60], v19, s[8:9] offset:16
	global_load_dwordx4 v[61:64], v6, s[8:9] offset:32
	global_load_dwordx4 v[65:68], v6, s[8:9] offset:48
	global_load_dwordx2 v[17:18], v6, s[8:9] offset:64
	global_load_dwordx4 v[69:72], v19, s[8:9] offset:32
	ds_read2_b32 v[6:7], v52 offset0:16 offset1:216
	ds_read2_b32 v[77:78], v47 offset0:32 offset1:232
	global_load_dwordx4 v[73:76], v19, s[8:9] offset:48
	s_movk_i32 s4, 0x64
	v_cmp_gt_u32_e32 vcc, s4, v0
	s_movk_i32 s4, 0x63
	s_waitcnt vmcnt(8) lgkmcnt(1)
	v_mul_f32_e32 v79, v6, v14
	v_mul_f32_e32 v14, v42, v14
	v_fmac_f32_e32 v79, v42, v13
	v_fma_f32 v80, v6, v13, -v14
	global_load_dwordx2 v[13:14], v19, s[8:9] offset:64
	s_waitcnt lgkmcnt(0)
	v_mul_f32_e32 v81, v77, v16
	v_mul_f32_e32 v6, v40, v16
	v_fmac_f32_e32 v81, v40, v15
	v_fma_f32 v77, v77, v15, -v6
	ds_read2_b32 v[15:16], v45 offset0:48 offset1:248
	s_waitcnt vmcnt(8)
	v_mul_f32_e32 v20, v7, v22
	v_mul_f32_e32 v6, v43, v22
	v_fmac_f32_e32 v20, v43, v21
	v_fma_f32 v21, v7, v21, -v6
	ds_read2_b32 v[6:7], v48 offset1:200
	v_mul_f32_e32 v43, v78, v24
	v_mul_f32_e32 v19, v41, v24
	s_waitcnt vmcnt(7)
	v_mul_f32_e32 v24, v38, v54
	v_fmac_f32_e32 v43, v41, v23
	v_fma_f32 v42, v78, v23, -v19
	ds_read2_b32 v[22:23], v44 offset0:16 offset1:216
	s_waitcnt lgkmcnt(2)
	v_mul_f32_e32 v19, v15, v54
	v_fma_f32 v78, v15, v53, -v24
	v_mul_f32_e32 v15, v36, v56
	s_waitcnt lgkmcnt(1)
	v_mul_f32_e32 v82, v6, v56
	v_fma_f32 v83, v6, v55, -v15
	s_waitcnt vmcnt(6)
	v_mul_f32_e32 v6, v39, v58
	v_fmac_f32_e32 v19, v38, v53
	v_fmac_f32_e32 v82, v36, v55
	ds_read2_b32 v[24:25], v49 offset0:32 offset1:232
	ds_read2_b32 v[40:41], v50 offset0:48 offset1:248
	v_mul_f32_e32 v38, v16, v58
	v_fma_f32 v36, v16, v57, -v6
	ds_read2_b32 v[15:16], v46 offset1:200
	v_mul_f32_e32 v54, v7, v60
	v_mul_f32_e32 v6, v37, v60
	v_fmac_f32_e32 v54, v37, v59
	v_fma_f32 v53, v7, v59, -v6
	ds_read2_b32 v[58:59], v51 offset0:16 offset1:216
	s_waitcnt vmcnt(5) lgkmcnt(4)
	v_mul_f32_e32 v60, v22, v62
	v_mul_f32_e32 v6, v26, v62
	v_fmac_f32_e32 v60, v26, v61
	v_fma_f32 v22, v22, v61, -v6
	s_waitcnt lgkmcnt(3)
	v_mul_f32_e32 v26, v24, v64
	v_mul_f32_e32 v6, v28, v64
	v_fmac_f32_e32 v26, v28, v63
	v_fma_f32 v24, v24, v63, -v6
	s_waitcnt vmcnt(4) lgkmcnt(2)
	v_mul_f32_e32 v28, v40, v66
	v_mul_f32_e32 v6, v30, v66
	s_waitcnt lgkmcnt(1)
	v_mul_f32_e32 v61, v15, v68
	v_fmac_f32_e32 v28, v30, v65
	v_fma_f32 v30, v40, v65, -v6
	v_fmac_f32_e32 v61, v32, v67
	v_mul_f32_e32 v6, v32, v68
	s_waitcnt vmcnt(3) lgkmcnt(0)
	v_mul_f32_e32 v32, v58, v18
	v_mul_f32_e32 v18, v34, v18
	v_fmac_f32_e32 v32, v34, v17
	v_fma_f32 v17, v58, v17, -v18
	s_waitcnt vmcnt(2)
	v_mul_f32_e32 v18, v27, v70
	v_fma_f32 v34, v23, v69, -v18
	v_mul_f32_e32 v18, v29, v72
	v_fma_f32 v55, v25, v71, -v18
	s_waitcnt vmcnt(1)
	v_mul_f32_e32 v18, v31, v74
	v_mul_f32_e32 v40, v41, v74
	v_fma_f32 v37, v41, v73, -v18
	v_mul_f32_e32 v58, v16, v76
	v_fmac_f32_e32 v58, v33, v75
	v_mul_f32_e32 v18, v33, v76
	v_fma_f32 v15, v15, v67, -v6
	v_fmac_f32_e32 v38, v39, v57
	v_mul_f32_e32 v39, v23, v70
	v_mul_f32_e32 v57, v25, v72
	v_fma_f32 v56, v16, v75, -v18
	v_sub_f32_e32 v16, v77, v15
	v_fmac_f32_e32 v39, v27, v69
	v_sub_f32_e32 v18, v83, v24
	v_sub_f32_e32 v23, v81, v82
	;; [unrolled: 1-line block ×3, first 2 shown]
	v_add_f32_e32 v23, v23, v27
	ds_read2_b32 v[6:7], v1 offset1:200
	v_fmac_f32_e32 v57, v29, v71
	v_fmac_f32_e32 v40, v31, v73
	s_waitcnt vmcnt(0) lgkmcnt(0)
	s_barrier
	v_mul_f32_e32 v41, v59, v14
	v_mul_f32_e32 v14, v35, v14
	v_fma_f32 v33, v59, v13, -v14
	v_add_f32_e32 v14, v82, v26
	v_fma_f32 v14, -0.5, v14, v4
	v_mov_b32_e32 v25, v14
	v_fmac_f32_e32 v25, 0xbf737871, v16
	v_fmac_f32_e32 v14, 0x3f737871, v16
	;; [unrolled: 1-line block ×6, first 2 shown]
	v_add_f32_e32 v23, v81, v61
	v_fma_f32 v27, -0.5, v23, v4
	v_mov_b32_e32 v29, v27
	v_fmac_f32_e32 v41, v35, v13
	v_add_f32_e32 v13, v4, v81
	v_fmac_f32_e32 v29, 0x3f737871, v18
	v_sub_f32_e32 v4, v82, v81
	v_sub_f32_e32 v23, v26, v61
	v_fmac_f32_e32 v27, 0xbf737871, v18
	v_fmac_f32_e32 v29, 0xbf167918, v16
	v_add_f32_e32 v4, v4, v23
	v_fmac_f32_e32 v27, 0x3f167918, v16
	v_fmac_f32_e32 v29, 0x3e9e377a, v4
	;; [unrolled: 1-line block ×3, first 2 shown]
	v_add_f32_e32 v4, v6, v77
	v_add_f32_e32 v4, v4, v83
	;; [unrolled: 1-line block ×7, first 2 shown]
	v_fma_f32 v59, -0.5, v4, v6
	v_add_f32_e32 v13, v13, v61
	v_sub_f32_e32 v4, v81, v61
	v_mov_b32_e32 v61, v59
	v_fmac_f32_e32 v61, 0x3f737871, v4
	v_sub_f32_e32 v16, v82, v26
	v_sub_f32_e32 v18, v77, v83
	;; [unrolled: 1-line block ×3, first 2 shown]
	v_fmac_f32_e32 v59, 0xbf737871, v4
	v_fmac_f32_e32 v61, 0x3f167918, v16
	v_add_f32_e32 v18, v18, v23
	v_fmac_f32_e32 v59, 0xbf167918, v16
	v_fmac_f32_e32 v61, 0x3e9e377a, v18
	v_fmac_f32_e32 v59, 0x3e9e377a, v18
	v_add_f32_e32 v18, v77, v15
	v_fma_f32 v62, -0.5, v18, v6
	v_mov_b32_e32 v63, v62
	v_fmac_f32_e32 v63, 0xbf737871, v16
	v_fmac_f32_e32 v62, 0x3f737871, v16
	;; [unrolled: 1-line block ×4, first 2 shown]
	v_add_f32_e32 v4, v79, v19
	v_add_f32_e32 v4, v4, v60
	v_sub_f32_e32 v6, v83, v77
	v_sub_f32_e32 v15, v24, v15
	v_add_f32_e32 v4, v4, v28
	v_add_f32_e32 v6, v6, v15
	;; [unrolled: 1-line block ×4, first 2 shown]
	v_fma_f32 v4, -0.5, v4, v79
	v_fmac_f32_e32 v63, 0x3e9e377a, v6
	v_fmac_f32_e32 v62, 0x3e9e377a, v6
	v_sub_f32_e32 v6, v78, v17
	v_mov_b32_e32 v16, v4
	v_fmac_f32_e32 v16, 0xbf737871, v6
	v_sub_f32_e32 v18, v22, v30
	v_sub_f32_e32 v23, v19, v60
	;; [unrolled: 1-line block ×3, first 2 shown]
	v_fmac_f32_e32 v4, 0x3f737871, v6
	v_fmac_f32_e32 v16, 0xbf167918, v18
	v_add_f32_e32 v23, v23, v24
	v_fmac_f32_e32 v4, 0x3f167918, v18
	v_fmac_f32_e32 v16, 0x3e9e377a, v23
	;; [unrolled: 1-line block ×3, first 2 shown]
	v_add_f32_e32 v23, v19, v32
	v_fmac_f32_e32 v79, -0.5, v23
	v_mov_b32_e32 v24, v79
	v_fmac_f32_e32 v24, 0x3f737871, v18
	v_fmac_f32_e32 v79, 0xbf737871, v18
	;; [unrolled: 1-line block ×4, first 2 shown]
	v_add_f32_e32 v6, v80, v78
	v_add_f32_e32 v6, v6, v22
	v_sub_f32_e32 v23, v60, v19
	v_sub_f32_e32 v26, v28, v32
	v_add_f32_e32 v6, v6, v30
	v_add_f32_e32 v23, v23, v26
	;; [unrolled: 1-line block ×4, first 2 shown]
	v_fma_f32 v64, -0.5, v6, v80
	v_sub_f32_e32 v6, v19, v32
	v_mov_b32_e32 v32, v64
	v_fmac_f32_e32 v24, 0x3e9e377a, v23
	v_fmac_f32_e32 v79, 0x3e9e377a, v23
	;; [unrolled: 1-line block ×3, first 2 shown]
	v_sub_f32_e32 v18, v60, v28
	v_sub_f32_e32 v19, v78, v22
	;; [unrolled: 1-line block ×3, first 2 shown]
	v_fmac_f32_e32 v64, 0xbf737871, v6
	v_fmac_f32_e32 v32, 0x3f167918, v18
	v_add_f32_e32 v19, v19, v23
	v_fmac_f32_e32 v64, 0xbf167918, v18
	v_fmac_f32_e32 v32, 0x3e9e377a, v19
	v_fmac_f32_e32 v64, 0x3e9e377a, v19
	v_add_f32_e32 v19, v78, v17
	v_fmac_f32_e32 v80, -0.5, v19
	v_mov_b32_e32 v28, v80
	v_sub_f32_e32 v19, v22, v78
	v_sub_f32_e32 v17, v30, v17
	v_fmac_f32_e32 v80, 0x3f737871, v18
	v_add_f32_e32 v17, v19, v17
	v_fmac_f32_e32 v80, 0xbf167918, v6
	v_fmac_f32_e32 v28, 0xbf737871, v18
	v_fmac_f32_e32 v80, 0x3e9e377a, v17
	v_fmac_f32_e32 v28, 0x3f167918, v6
	v_mul_f32_e32 v65, 0xbf737871, v80
	v_mul_f32_e32 v66, 0xbf167918, v64
	;; [unrolled: 1-line block ×3, first 2 shown]
	v_fmac_f32_e32 v28, 0x3e9e377a, v17
	v_fmac_f32_e32 v65, 0xbe9e377a, v79
	;; [unrolled: 1-line block ×3, first 2 shown]
	v_add_f32_e32 v22, v13, v15
	v_mul_f32_e32 v30, 0xbf167918, v32
	v_mul_f32_e32 v60, 0xbf737871, v28
	v_add_f32_e32 v19, v27, v65
	v_fmac_f32_e32 v66, 0xbf4f1bbd, v4
	v_mul_f32_e32 v67, 0x3f4f1bbd, v32
	v_add_f32_e32 v4, v59, v64
	v_sub_f32_e32 v17, v13, v15
	v_sub_f32_e32 v13, v27, v65
	;; [unrolled: 1-line block ×3, first 2 shown]
	v_add_f32_e32 v59, v54, v57
	v_fmac_f32_e32 v30, 0x3f4f1bbd, v16
	v_fmac_f32_e32 v60, 0x3e9e377a, v24
	;; [unrolled: 1-line block ×3, first 2 shown]
	v_mul_f32_e32 v68, 0x3e9e377a, v28
	v_mul_f32_e32 v69, 0xbe9e377a, v80
	v_fma_f32 v59, -0.5, v59, v5
	v_add_f32_e32 v23, v25, v30
	v_add_f32_e32 v18, v29, v60
	;; [unrolled: 1-line block ×4, first 2 shown]
	v_fmac_f32_e32 v68, 0x3f737871, v24
	v_fmac_f32_e32 v69, 0x3f737871, v79
	v_sub_f32_e32 v15, v25, v30
	v_sub_f32_e32 v16, v29, v60
	;; [unrolled: 1-line block ×5, first 2 shown]
	v_mov_b32_e32 v61, v59
	v_add_f32_e32 v24, v63, v68
	v_add_f32_e32 v28, v62, v69
	v_sub_f32_e32 v29, v63, v68
	v_sub_f32_e32 v25, v62, v69
	v_fmac_f32_e32 v61, 0xbf737871, v60
	v_sub_f32_e32 v62, v53, v55
	v_sub_f32_e32 v63, v43, v54
	;; [unrolled: 1-line block ×3, first 2 shown]
	v_fmac_f32_e32 v59, 0x3f737871, v60
	v_fmac_f32_e32 v61, 0xbf167918, v62
	v_add_f32_e32 v63, v63, v64
	v_fmac_f32_e32 v59, 0x3f167918, v62
	v_fmac_f32_e32 v61, 0x3e9e377a, v63
	;; [unrolled: 1-line block ×3, first 2 shown]
	v_add_f32_e32 v63, v43, v58
	v_add_f32_e32 v35, v5, v43
	v_fmac_f32_e32 v5, -0.5, v63
	v_mov_b32_e32 v63, v5
	v_add_f32_e32 v35, v35, v54
	v_fmac_f32_e32 v63, 0x3f737871, v62
	v_fmac_f32_e32 v5, 0xbf737871, v62
	v_add_f32_e32 v62, v53, v55
	v_add_f32_e32 v35, v35, v57
	v_sub_f32_e32 v64, v54, v43
	v_sub_f32_e32 v65, v57, v58
	v_fma_f32 v62, -0.5, v62, v7
	v_add_f32_e32 v35, v35, v58
	v_fmac_f32_e32 v63, 0xbf167918, v60
	v_add_f32_e32 v64, v64, v65
	v_fmac_f32_e32 v5, 0x3f167918, v60
	v_sub_f32_e32 v43, v43, v58
	v_mov_b32_e32 v58, v62
	v_fmac_f32_e32 v63, 0x3e9e377a, v64
	v_fmac_f32_e32 v5, 0x3e9e377a, v64
	;; [unrolled: 1-line block ×3, first 2 shown]
	v_sub_f32_e32 v54, v54, v57
	v_sub_f32_e32 v57, v42, v53
	;; [unrolled: 1-line block ×3, first 2 shown]
	v_fmac_f32_e32 v62, 0xbf737871, v43
	v_fmac_f32_e32 v58, 0x3f167918, v54
	v_add_f32_e32 v57, v57, v64
	v_fmac_f32_e32 v62, 0xbf167918, v54
	v_fmac_f32_e32 v58, 0x3e9e377a, v57
	;; [unrolled: 1-line block ×3, first 2 shown]
	v_add_f32_e32 v57, v42, v56
	v_add_f32_e32 v60, v7, v42
	v_fmac_f32_e32 v7, -0.5, v57
	v_mov_b32_e32 v57, v7
	v_fmac_f32_e32 v57, 0xbf737871, v54
	v_fmac_f32_e32 v7, 0x3f737871, v54
	;; [unrolled: 1-line block ×4, first 2 shown]
	v_add_f32_e32 v43, v39, v40
	v_add_f32_e32 v60, v60, v53
	v_sub_f32_e32 v42, v53, v42
	v_sub_f32_e32 v53, v55, v56
	v_fma_f32 v43, -0.5, v43, v20
	v_add_f32_e32 v60, v60, v55
	v_add_f32_e32 v42, v42, v53
	v_sub_f32_e32 v53, v36, v33
	v_mov_b32_e32 v54, v43
	v_add_f32_e32 v60, v60, v56
	v_fmac_f32_e32 v54, 0xbf737871, v53
	v_sub_f32_e32 v55, v34, v37
	v_sub_f32_e32 v56, v38, v39
	v_sub_f32_e32 v64, v41, v40
	v_fmac_f32_e32 v43, 0x3f737871, v53
	v_fmac_f32_e32 v54, 0xbf167918, v55
	v_add_f32_e32 v56, v56, v64
	v_fmac_f32_e32 v43, 0x3f167918, v55
	v_fmac_f32_e32 v54, 0x3e9e377a, v56
	;; [unrolled: 1-line block ×3, first 2 shown]
	v_add_f32_e32 v56, v38, v41
	v_fmac_f32_e32 v57, 0x3e9e377a, v42
	v_fmac_f32_e32 v7, 0x3e9e377a, v42
	v_add_f32_e32 v42, v20, v38
	v_fmac_f32_e32 v20, -0.5, v56
	v_mov_b32_e32 v56, v20
	v_add_f32_e32 v42, v42, v39
	v_fmac_f32_e32 v56, 0x3f737871, v55
	v_fmac_f32_e32 v20, 0xbf737871, v55
	v_add_f32_e32 v55, v34, v37
	v_add_f32_e32 v42, v42, v40
	v_sub_f32_e32 v64, v39, v38
	v_sub_f32_e32 v65, v40, v41
	v_fma_f32 v55, -0.5, v55, v21
	v_add_f32_e32 v42, v42, v41
	v_fmac_f32_e32 v56, 0xbf167918, v53
	v_add_f32_e32 v64, v64, v65
	v_fmac_f32_e32 v20, 0x3f167918, v53
	v_sub_f32_e32 v38, v38, v41
	v_mov_b32_e32 v41, v55
	v_fmac_f32_e32 v56, 0x3e9e377a, v64
	v_fmac_f32_e32 v20, 0x3e9e377a, v64
	;; [unrolled: 1-line block ×3, first 2 shown]
	v_sub_f32_e32 v39, v39, v40
	v_sub_f32_e32 v40, v36, v34
	;; [unrolled: 1-line block ×3, first 2 shown]
	v_fmac_f32_e32 v55, 0xbf737871, v38
	v_fmac_f32_e32 v41, 0x3f167918, v39
	v_add_f32_e32 v40, v40, v64
	v_fmac_f32_e32 v55, 0xbf167918, v39
	v_add_f32_e32 v53, v21, v36
	v_fmac_f32_e32 v41, 0x3e9e377a, v40
	v_fmac_f32_e32 v55, 0x3e9e377a, v40
	v_add_f32_e32 v40, v36, v33
	v_add_f32_e32 v53, v53, v34
	v_fmac_f32_e32 v21, -0.5, v40
	v_add_f32_e32 v53, v53, v37
	v_mov_b32_e32 v40, v21
	v_add_f32_e32 v53, v53, v33
	v_fmac_f32_e32 v40, 0xbf737871, v39
	v_sub_f32_e32 v34, v34, v36
	v_sub_f32_e32 v33, v37, v33
	v_fmac_f32_e32 v21, 0x3f737871, v39
	v_fmac_f32_e32 v40, 0x3f167918, v38
	v_add_f32_e32 v33, v34, v33
	v_fmac_f32_e32 v21, 0xbf167918, v38
	v_fmac_f32_e32 v40, 0x3e9e377a, v33
	;; [unrolled: 1-line block ×3, first 2 shown]
	v_add_f32_e32 v6, v14, v66
	v_sub_f32_e32 v14, v14, v66
	v_mul_f32_e32 v39, 0xbf167918, v41
	v_mul_f32_e32 v66, 0xbf737871, v40
	;; [unrolled: 1-line block ×5, first 2 shown]
	v_fmac_f32_e32 v39, 0x3f4f1bbd, v54
	v_fmac_f32_e32 v68, 0xbe9e377a, v20
	v_mul_f32_e32 v70, 0xbf167918, v55
	v_fmac_f32_e32 v40, 0x3f737871, v56
	v_fmac_f32_e32 v21, 0x3f737871, v20
	v_mul_f32_e32 v20, 0xbf4f1bbd, v55
	v_add_f32_e32 v65, v61, v39
	v_fmac_f32_e32 v70, 0xbf4f1bbd, v43
	v_add_f32_e32 v36, v57, v40
	v_add_f32_e32 v37, v7, v21
	v_fmac_f32_e32 v20, 0x3f167918, v43
	v_sub_f32_e32 v43, v61, v39
	v_sub_f32_e32 v39, v57, v40
	;; [unrolled: 1-line block ×3, first 2 shown]
	v_mul_u32_u24_e32 v7, 0x190, v12
	v_mov_b32_e32 v12, 2
	v_lshlrev_b32_sdwa v11, v12, v11 dst_sel:DWORD dst_unused:UNUSED_PAD src0_sel:DWORD src1_sel:BYTE_0
	v_add_f32_e32 v69, v5, v68
	v_add_f32_e32 v33, v60, v53
	v_sub_f32_e32 v55, v5, v68
	v_sub_f32_e32 v5, v60, v53
	v_add3_u32 v53, 0, v7, v11
	v_mul_f32_e32 v41, 0x3f4f1bbd, v41
	ds_write2_b32 v53, v22, v23 offset1:10
	ds_write2_b32 v53, v18, v19 offset0:20 offset1:30
	ds_write2_b32 v53, v6, v17 offset0:40 offset1:50
	;; [unrolled: 1-line block ×4, first 2 shown]
	v_mul_u32_u24_e32 v6, 0x190, v9
	v_lshlrev_b32_e32 v7, 2, v10
	v_add_f32_e32 v64, v35, v42
	v_fmac_f32_e32 v66, 0x3e9e377a, v56
	v_fmac_f32_e32 v41, 0x3f167918, v54
	v_sub_f32_e32 v42, v35, v42
	v_add3_u32 v9, 0, v6, v7
	v_add_f32_e32 v67, v63, v66
	v_add_f32_e32 v71, v59, v70
	;; [unrolled: 1-line block ×4, first 2 shown]
	v_sub_f32_e32 v54, v63, v66
	v_sub_f32_e32 v56, v59, v70
	;; [unrolled: 1-line block ×4, first 2 shown]
	ds_write2_b32 v9, v64, v65 offset1:10
	ds_write2_b32 v9, v67, v69 offset0:20 offset1:30
	ds_write2_b32 v9, v71, v42 offset0:40 offset1:50
	;; [unrolled: 1-line block ×4, first 2 shown]
	s_waitcnt lgkmcnt(0)
	s_barrier
	ds_read2_b32 v[6:7], v1 offset1:200
	ds_read2_b32 v[42:43], v52 offset0:16 offset1:216
	ds_read2_b32 v[77:78], v47 offset0:32 offset1:232
	ds_read2_b32 v[22:23], v45 offset0:48 offset1:248
	ds_read2_b32 v[20:21], v48 offset1:200
	ds_read2_b32 v[18:19], v44 offset0:16 offset1:216
	ds_read2_b32 v[16:17], v49 offset0:32 offset1:232
	;; [unrolled: 1-line block ×3, first 2 shown]
	ds_read2_b32 v[12:13], v46 offset1:200
	ds_read2_b32 v[10:11], v51 offset0:16 offset1:216
	s_waitcnt lgkmcnt(0)
	s_barrier
	ds_write2_b32 v53, v31, v32 offset1:10
	ds_write2_b32 v53, v24, v28 offset0:20 offset1:30
	ds_write2_b32 v53, v4, v30 offset0:40 offset1:50
	ds_write2_b32 v53, v26, v29 offset0:60 offset1:70
	ds_write2_b32 v53, v25, v27 offset0:80 offset1:90
	ds_write2_b32 v9, v33, v34 offset1:10
	ds_write2_b32 v9, v36, v37 offset0:20 offset1:30
	ds_write2_b32 v9, v38, v5 offset0:40 offset1:50
	;; [unrolled: 1-line block ×4, first 2 shown]
	v_add_u32_e32 v4, 0xffffff9c, v0
	v_cndmask_b32_e32 v27, v4, v0, vcc
	v_mul_i32_i24_e32 v4, 9, v27
	v_mov_b32_e32 v5, 0
	v_lshlrev_b64 v[24:25], 3, v[4:5]
	v_mov_b32_e32 v4, s9
	v_add_co_u32_e32 v36, vcc, s8, v24
	v_addc_co_u32_e32 v37, vcc, v4, v25, vcc
	s_waitcnt lgkmcnt(0)
	s_barrier
	global_load_dwordx4 v[28:31], v[36:37], off offset:720
	v_lshrrev_b16_e32 v4, 2, v8
	v_mul_u32_u24_e32 v4, 0x147b, v4
	v_lshrrev_b32_e32 v4, 17, v4
	v_mul_lo_u16_e32 v9, 0x64, v4
	v_sub_u16_e32 v24, v8, v9
	v_mul_u32_u24_e32 v8, 9, v24
	v_lshlrev_b32_e32 v8, 3, v8
	global_load_dwordx4 v[32:35], v8, s[8:9] offset:720
	global_load_dwordx4 v[53:56], v[36:37], off offset:736
	global_load_dwordx4 v[57:60], v8, s[8:9] offset:736
	global_load_dwordx4 v[61:64], v[36:37], off offset:752
	global_load_dwordx4 v[65:68], v[36:37], off offset:768
	global_load_dwordx2 v[25:26], v[36:37], off offset:784
	global_load_dwordx4 v[69:72], v8, s[8:9] offset:752
	global_load_dwordx4 v[73:76], v8, s[8:9] offset:768
	global_load_dwordx2 v[79:80], v8, s[8:9] offset:784
	ds_read2_b32 v[36:37], v52 offset0:16 offset1:216
	ds_read2_b32 v[38:39], v47 offset0:32 offset1:232
	v_cmp_lt_u32_e32 vcc, s4, v0
	v_lshlrev_b32_e32 v27, 2, v27
	v_mul_u32_u24_e32 v4, 0xfa0, v4
	s_waitcnt vmcnt(9)
	v_mul_f32_e32 v8, v42, v29
	s_waitcnt lgkmcnt(1)
	v_fma_f32 v81, v36, v28, -v8
	s_waitcnt lgkmcnt(0)
	v_mul_f32_e32 v82, v38, v31
	v_mul_f32_e32 v8, v77, v31
	v_fmac_f32_e32 v82, v77, v30
	v_fma_f32 v77, v38, v30, -v8
	s_waitcnt vmcnt(8)
	v_mul_f32_e32 v30, v43, v33
	v_mul_f32_e32 v40, v36, v29
	;; [unrolled: 1-line block ×3, first 2 shown]
	v_fma_f32 v37, v37, v32, -v30
	ds_read2_b32 v[30:31], v48 offset1:200
	v_fmac_f32_e32 v40, v42, v28
	ds_read2_b32 v[28:29], v45 offset0:48 offset1:248
	v_mul_f32_e32 v42, v39, v35
	v_fmac_f32_e32 v36, v43, v32
	s_waitcnt vmcnt(7) lgkmcnt(1)
	v_mul_f32_e32 v84, v30, v56
	v_fmac_f32_e32 v42, v78, v34
	v_mul_f32_e32 v32, v78, v35
	s_waitcnt lgkmcnt(0)
	v_mul_f32_e32 v78, v28, v54
	v_fmac_f32_e32 v84, v20, v55
	v_mul_f32_e32 v20, v20, v56
	v_fmac_f32_e32 v78, v22, v53
	v_mul_f32_e32 v22, v22, v54
	v_fma_f32 v85, v30, v55, -v20
	s_waitcnt vmcnt(6)
	v_mul_f32_e32 v20, v23, v58
	v_fma_f32 v41, v39, v34, -v32
	v_fma_f32 v83, v28, v53, -v22
	ds_read2_b32 v[34:35], v49 offset0:32 offset1:232
	v_mul_f32_e32 v22, v29, v58
	v_fma_f32 v20, v29, v57, -v20
	v_mul_f32_e32 v52, v31, v60
	ds_read2_b32 v[28:29], v46 offset1:200
	v_fmac_f32_e32 v52, v21, v59
	v_mul_f32_e32 v21, v21, v60
	ds_read2_b32 v[38:39], v50 offset0:48 offset1:248
	v_fma_f32 v43, v31, v59, -v21
	ds_read2_b32 v[30:31], v51 offset0:16 offset1:216
	ds_read2_b32 v[32:33], v44 offset0:16 offset1:216
	s_waitcnt vmcnt(5) lgkmcnt(4)
	v_mul_f32_e32 v58, v34, v64
	s_waitcnt vmcnt(4) lgkmcnt(3)
	v_mul_f32_e32 v59, v28, v68
	v_fmac_f32_e32 v58, v16, v63
	v_mul_f32_e32 v16, v16, v64
	v_fmac_f32_e32 v59, v12, v67
	v_mul_f32_e32 v12, v12, v68
	s_waitcnt vmcnt(1)
	v_mul_f32_e32 v56, v29, v76
	v_fma_f32 v16, v34, v63, -v16
	s_waitcnt lgkmcnt(2)
	v_mul_f32_e32 v34, v38, v66
	v_fma_f32 v12, v28, v67, -v12
	s_waitcnt lgkmcnt(1)
	v_mul_f32_e32 v28, v30, v26
	v_fmac_f32_e32 v56, v13, v75
	v_mul_f32_e32 v13, v13, v76
	v_fmac_f32_e32 v34, v14, v65
	v_mul_f32_e32 v14, v14, v66
	v_fmac_f32_e32 v28, v10, v25
	v_mul_f32_e32 v10, v10, v26
	v_fma_f32 v54, v29, v75, -v13
	v_add_f32_e32 v13, v84, v58
	v_fmac_f32_e32 v22, v23, v57
	s_waitcnt lgkmcnt(0)
	v_mul_f32_e32 v57, v32, v62
	v_fma_f32 v14, v38, v65, -v14
	v_fma_f32 v10, v30, v25, -v10
	v_mul_f32_e32 v55, v35, v72
	v_mul_f32_e32 v38, v39, v74
	v_fma_f32 v25, -0.5, v13, v6
	v_fmac_f32_e32 v57, v18, v61
	v_mul_f32_e32 v18, v18, v62
	v_mul_f32_e32 v23, v33, v70
	v_fmac_f32_e32 v55, v17, v71
	v_mul_f32_e32 v17, v17, v72
	v_fmac_f32_e32 v38, v15, v73
	v_mul_f32_e32 v15, v15, v74
	v_sub_f32_e32 v13, v77, v12
	v_mov_b32_e32 v26, v25
	v_fma_f32 v32, v32, v61, -v18
	v_fmac_f32_e32 v23, v19, v69
	v_mul_f32_e32 v18, v19, v70
	v_fma_f32 v53, v35, v71, -v17
	v_fma_f32 v19, v39, v73, -v15
	v_fmac_f32_e32 v26, 0xbf737871, v13
	v_sub_f32_e32 v15, v85, v16
	v_sub_f32_e32 v17, v82, v84
	;; [unrolled: 1-line block ×3, first 2 shown]
	v_fmac_f32_e32 v25, 0x3f737871, v13
	v_fmac_f32_e32 v26, 0xbf167918, v15
	v_add_f32_e32 v17, v17, v29
	v_fmac_f32_e32 v25, 0x3f167918, v15
	ds_read2_b32 v[8:9], v1 offset1:200
	v_fmac_f32_e32 v26, 0x3e9e377a, v17
	v_fmac_f32_e32 v25, 0x3e9e377a, v17
	v_add_f32_e32 v17, v82, v59
	s_waitcnt vmcnt(0)
	v_mul_f32_e32 v39, v31, v80
	v_fma_f32 v29, -0.5, v17, v6
	v_fmac_f32_e32 v39, v11, v79
	v_mul_f32_e32 v11, v11, v80
	v_mov_b32_e32 v30, v29
	v_fma_f32 v21, v31, v79, -v11
	v_add_f32_e32 v11, v6, v82
	v_fmac_f32_e32 v30, 0x3f737871, v15
	v_sub_f32_e32 v6, v84, v82
	v_sub_f32_e32 v17, v58, v59
	v_fmac_f32_e32 v29, 0xbf737871, v15
	v_fmac_f32_e32 v30, 0xbf167918, v13
	v_add_f32_e32 v6, v6, v17
	v_fmac_f32_e32 v29, 0x3f167918, v13
	v_fmac_f32_e32 v30, 0x3e9e377a, v6
	;; [unrolled: 1-line block ×3, first 2 shown]
	s_waitcnt lgkmcnt(0)
	v_add_f32_e32 v6, v8, v77
	v_add_f32_e32 v6, v6, v85
	;; [unrolled: 1-line block ×7, first 2 shown]
	v_fma_f32 v60, -0.5, v6, v8
	v_add_f32_e32 v11, v11, v59
	v_sub_f32_e32 v6, v82, v59
	v_mov_b32_e32 v59, v60
	v_fmac_f32_e32 v59, 0x3f737871, v6
	v_sub_f32_e32 v13, v84, v58
	v_sub_f32_e32 v15, v77, v85
	;; [unrolled: 1-line block ×3, first 2 shown]
	v_fmac_f32_e32 v60, 0xbf737871, v6
	v_fmac_f32_e32 v59, 0x3f167918, v13
	v_add_f32_e32 v15, v15, v17
	v_fmac_f32_e32 v60, 0xbf167918, v13
	v_fmac_f32_e32 v59, 0x3e9e377a, v15
	v_fmac_f32_e32 v60, 0x3e9e377a, v15
	v_add_f32_e32 v15, v77, v12
	v_fma_f32 v58, -0.5, v15, v8
	v_mov_b32_e32 v61, v58
	v_fmac_f32_e32 v61, 0xbf737871, v13
	v_fmac_f32_e32 v58, 0x3f737871, v13
	;; [unrolled: 1-line block ×4, first 2 shown]
	v_add_f32_e32 v6, v40, v78
	v_sub_f32_e32 v8, v85, v77
	v_sub_f32_e32 v12, v16, v12
	v_add_f32_e32 v6, v6, v57
	v_add_f32_e32 v8, v8, v12
	;; [unrolled: 1-line block ×3, first 2 shown]
	v_fmac_f32_e32 v61, 0x3e9e377a, v8
	v_fmac_f32_e32 v58, 0x3e9e377a, v8
	v_add_f32_e32 v8, v6, v28
	v_add_f32_e32 v6, v57, v34
	v_fma_f32 v12, -0.5, v6, v40
	v_sub_f32_e32 v6, v83, v10
	v_mov_b32_e32 v13, v12
	v_fmac_f32_e32 v13, 0xbf737871, v6
	v_sub_f32_e32 v15, v32, v14
	v_sub_f32_e32 v16, v78, v57
	;; [unrolled: 1-line block ×3, first 2 shown]
	v_fmac_f32_e32 v12, 0x3f737871, v6
	v_fmac_f32_e32 v13, 0xbf167918, v15
	v_add_f32_e32 v16, v16, v17
	v_fmac_f32_e32 v12, 0x3f167918, v15
	v_fmac_f32_e32 v13, 0x3e9e377a, v16
	;; [unrolled: 1-line block ×3, first 2 shown]
	v_add_f32_e32 v16, v78, v28
	v_fmac_f32_e32 v40, -0.5, v16
	v_fma_f32 v18, v33, v69, -v18
	v_mov_b32_e32 v33, v40
	v_fmac_f32_e32 v33, 0x3f737871, v15
	v_fmac_f32_e32 v40, 0xbf737871, v15
	;; [unrolled: 1-line block ×4, first 2 shown]
	v_add_f32_e32 v6, v81, v83
	v_add_f32_e32 v6, v6, v32
	;; [unrolled: 1-line block ×5, first 2 shown]
	v_sub_f32_e32 v16, v57, v78
	v_sub_f32_e32 v17, v34, v28
	v_fma_f32 v63, -0.5, v6, v81
	v_add_f32_e32 v16, v16, v17
	v_sub_f32_e32 v6, v78, v28
	v_mov_b32_e32 v28, v63
	v_fmac_f32_e32 v33, 0x3e9e377a, v16
	v_fmac_f32_e32 v40, 0x3e9e377a, v16
	;; [unrolled: 1-line block ×3, first 2 shown]
	v_sub_f32_e32 v15, v57, v34
	v_sub_f32_e32 v16, v83, v32
	;; [unrolled: 1-line block ×3, first 2 shown]
	v_fmac_f32_e32 v63, 0xbf737871, v6
	v_fmac_f32_e32 v28, 0x3f167918, v15
	v_add_f32_e32 v16, v16, v17
	v_fmac_f32_e32 v63, 0xbf167918, v15
	v_fmac_f32_e32 v28, 0x3e9e377a, v16
	;; [unrolled: 1-line block ×3, first 2 shown]
	v_add_f32_e32 v16, v83, v10
	v_fmac_f32_e32 v81, -0.5, v16
	v_mov_b32_e32 v57, v81
	v_fmac_f32_e32 v57, 0xbf737871, v15
	v_sub_f32_e32 v16, v32, v83
	v_sub_f32_e32 v10, v14, v10
	v_fmac_f32_e32 v81, 0x3f737871, v15
	v_fmac_f32_e32 v57, 0x3f167918, v6
	v_add_f32_e32 v10, v16, v10
	v_fmac_f32_e32 v81, 0xbf167918, v6
	v_fmac_f32_e32 v57, 0x3e9e377a, v10
	;; [unrolled: 1-line block ×3, first 2 shown]
	v_mul_f32_e32 v64, 0xbf737871, v57
	v_mul_f32_e32 v65, 0xbf737871, v81
	;; [unrolled: 1-line block ×4, first 2 shown]
	v_fmac_f32_e32 v64, 0x3e9e377a, v33
	v_fmac_f32_e32 v65, 0xbe9e377a, v40
	v_mul_f32_e32 v66, 0xbf167918, v63
	v_fmac_f32_e32 v57, 0x3f737871, v33
	v_fmac_f32_e32 v68, 0x3f737871, v40
	v_mul_f32_e32 v40, 0xbf4f1bbd, v63
	v_mul_f32_e32 v10, 0xbf167918, v28
	v_add_f32_e32 v14, v30, v64
	v_fmac_f32_e32 v66, 0xbf4f1bbd, v12
	v_mul_f32_e32 v67, 0x3f4f1bbd, v28
	v_add_f32_e32 v32, v61, v57
	v_fmac_f32_e32 v40, 0x3f167918, v12
	v_sub_f32_e32 v12, v30, v64
	v_sub_f32_e32 v30, v61, v57
	v_add_f32_e32 v57, v52, v55
	v_fmac_f32_e32 v10, 0x3f4f1bbd, v13
	v_fmac_f32_e32 v67, 0x3f167918, v13
	v_fma_f32 v57, -0.5, v57, v7
	v_add_f32_e32 v16, v11, v8
	v_add_f32_e32 v17, v26, v10
	;; [unrolled: 1-line block ×6, first 2 shown]
	v_sub_f32_e32 v13, v11, v8
	v_sub_f32_e32 v11, v26, v10
	;; [unrolled: 1-line block ×7, first 2 shown]
	v_mov_b32_e32 v59, v57
	v_add_f32_e32 v34, v31, v62
	v_add_f32_e32 v28, v60, v40
	v_sub_f32_e32 v31, v31, v62
	v_sub_f32_e32 v26, v60, v40
	v_fmac_f32_e32 v59, 0xbf737871, v58
	v_sub_f32_e32 v60, v43, v53
	v_sub_f32_e32 v61, v42, v52
	;; [unrolled: 1-line block ×3, first 2 shown]
	v_fmac_f32_e32 v57, 0x3f737871, v58
	v_fmac_f32_e32 v59, 0xbf167918, v60
	v_add_f32_e32 v61, v61, v62
	v_fmac_f32_e32 v57, 0x3f167918, v60
	v_fmac_f32_e32 v59, 0x3e9e377a, v61
	;; [unrolled: 1-line block ×3, first 2 shown]
	v_add_f32_e32 v61, v42, v56
	v_add_f32_e32 v40, v7, v42
	v_fmac_f32_e32 v7, -0.5, v61
	v_mov_b32_e32 v61, v7
	v_add_f32_e32 v40, v40, v52
	v_fmac_f32_e32 v61, 0x3f737871, v60
	v_fmac_f32_e32 v7, 0xbf737871, v60
	v_add_f32_e32 v60, v43, v53
	v_add_f32_e32 v40, v40, v55
	v_sub_f32_e32 v62, v52, v42
	v_sub_f32_e32 v63, v55, v56
	v_fma_f32 v60, -0.5, v60, v9
	v_add_f32_e32 v40, v40, v56
	v_fmac_f32_e32 v61, 0xbf167918, v58
	v_add_f32_e32 v62, v62, v63
	v_fmac_f32_e32 v7, 0x3f167918, v58
	v_sub_f32_e32 v42, v42, v56
	v_mov_b32_e32 v56, v60
	v_fmac_f32_e32 v61, 0x3e9e377a, v62
	v_fmac_f32_e32 v7, 0x3e9e377a, v62
	v_fmac_f32_e32 v56, 0x3f737871, v42
	v_sub_f32_e32 v52, v52, v55
	v_sub_f32_e32 v55, v41, v43
	;; [unrolled: 1-line block ×3, first 2 shown]
	v_fmac_f32_e32 v60, 0xbf737871, v42
	v_fmac_f32_e32 v56, 0x3f167918, v52
	v_add_f32_e32 v55, v55, v62
	v_fmac_f32_e32 v60, 0xbf167918, v52
	v_fmac_f32_e32 v56, 0x3e9e377a, v55
	;; [unrolled: 1-line block ×3, first 2 shown]
	v_add_f32_e32 v55, v41, v54
	v_add_f32_e32 v58, v9, v41
	v_fmac_f32_e32 v9, -0.5, v55
	v_mov_b32_e32 v55, v9
	v_add_f32_e32 v58, v58, v43
	v_fmac_f32_e32 v55, 0xbf737871, v52
	v_sub_f32_e32 v41, v43, v41
	v_sub_f32_e32 v43, v53, v54
	v_fmac_f32_e32 v9, 0x3f737871, v52
	v_fmac_f32_e32 v55, 0x3f167918, v42
	v_add_f32_e32 v41, v41, v43
	v_fmac_f32_e32 v9, 0xbf167918, v42
	v_fmac_f32_e32 v55, 0x3e9e377a, v41
	;; [unrolled: 1-line block ×3, first 2 shown]
	v_add_f32_e32 v41, v36, v22
	v_add_f32_e32 v41, v41, v23
	;; [unrolled: 1-line block ×5, first 2 shown]
	v_fma_f32 v43, -0.5, v41, v36
	v_add_f32_e32 v58, v58, v53
	v_sub_f32_e32 v41, v20, v21
	v_mov_b32_e32 v52, v43
	v_add_f32_e32 v58, v58, v54
	v_fmac_f32_e32 v52, 0xbf737871, v41
	v_sub_f32_e32 v53, v18, v19
	v_sub_f32_e32 v54, v22, v23
	;; [unrolled: 1-line block ×3, first 2 shown]
	v_fmac_f32_e32 v43, 0x3f737871, v41
	v_fmac_f32_e32 v52, 0xbf167918, v53
	v_add_f32_e32 v54, v54, v62
	v_fmac_f32_e32 v43, 0x3f167918, v53
	v_fmac_f32_e32 v52, 0x3e9e377a, v54
	;; [unrolled: 1-line block ×3, first 2 shown]
	v_add_f32_e32 v54, v22, v39
	v_fmac_f32_e32 v36, -0.5, v54
	v_mov_b32_e32 v54, v36
	v_fmac_f32_e32 v54, 0x3f737871, v53
	v_fmac_f32_e32 v36, 0xbf737871, v53
	;; [unrolled: 1-line block ×4, first 2 shown]
	v_add_f32_e32 v41, v37, v20
	v_add_f32_e32 v41, v41, v18
	v_sub_f32_e32 v62, v23, v22
	v_sub_f32_e32 v63, v38, v39
	v_add_f32_e32 v41, v41, v19
	v_add_f32_e32 v62, v62, v63
	;; [unrolled: 1-line block ×4, first 2 shown]
	v_fmac_f32_e32 v54, 0x3e9e377a, v62
	v_fmac_f32_e32 v36, 0x3e9e377a, v62
	v_fma_f32 v62, -0.5, v41, v37
	v_sub_f32_e32 v22, v22, v39
	v_mov_b32_e32 v41, v62
	v_fmac_f32_e32 v41, 0x3f737871, v22
	v_sub_f32_e32 v23, v23, v38
	v_sub_f32_e32 v38, v20, v18
	;; [unrolled: 1-line block ×3, first 2 shown]
	v_fmac_f32_e32 v62, 0xbf737871, v22
	v_fmac_f32_e32 v41, 0x3f167918, v23
	v_add_f32_e32 v38, v38, v39
	v_fmac_f32_e32 v62, 0xbf167918, v23
	v_fmac_f32_e32 v41, 0x3e9e377a, v38
	;; [unrolled: 1-line block ×3, first 2 shown]
	v_add_f32_e32 v38, v20, v21
	v_fmac_f32_e32 v37, -0.5, v38
	v_mov_b32_e32 v38, v37
	v_fmac_f32_e32 v38, 0xbf737871, v23
	v_sub_f32_e32 v18, v18, v20
	v_sub_f32_e32 v19, v19, v21
	v_fmac_f32_e32 v38, 0x3f167918, v22
	v_add_f32_e32 v18, v18, v19
	v_fmac_f32_e32 v37, 0x3f737871, v23
	v_fmac_f32_e32 v38, 0x3e9e377a, v18
	;; [unrolled: 1-line block ×3, first 2 shown]
	v_mul_f32_e32 v19, 0xbf167918, v41
	v_mul_f32_e32 v66, 0x3f4f1bbd, v41
	v_fmac_f32_e32 v37, 0x3e9e377a, v18
	v_fmac_f32_e32 v19, 0x3f4f1bbd, v52
	v_mul_f32_e32 v21, 0xbf737871, v38
	v_fmac_f32_e32 v66, 0x3f167918, v52
	v_mul_f32_e32 v52, 0x3e9e377a, v38
	v_fmac_f32_e32 v21, 0x3e9e377a, v54
	v_fmac_f32_e32 v52, 0x3f737871, v54
	v_mul_f32_e32 v54, 0xbe9e377a, v37
	v_mul_f32_e32 v64, 0xbf167918, v62
	v_fmac_f32_e32 v54, 0x3f737871, v36
	v_mul_f32_e32 v62, 0xbf4f1bbd, v62
	v_mul_f32_e32 v23, 0xbf737871, v37
	v_fmac_f32_e32 v64, 0xbf4f1bbd, v43
	v_add_f32_e32 v38, v55, v52
	v_add_f32_e32 v37, v9, v54
	v_fmac_f32_e32 v62, 0x3f167918, v43
	v_sub_f32_e32 v43, v55, v52
	v_sub_f32_e32 v52, v9, v54
	v_mov_b32_e32 v9, 0xfa0
	v_cndmask_b32_e32 v9, 0, v9, vcc
	v_add_f32_e32 v18, v40, v42
	v_add_f32_e32 v41, v56, v66
	v_sub_f32_e32 v67, v40, v42
	v_sub_f32_e32 v42, v56, v66
	v_add3_u32 v56, 0, v9, v27
	v_add_f32_e32 v39, v58, v53
	v_sub_f32_e32 v40, v58, v53
	v_add_u32_e32 v58, 0x400, v56
	s_barrier
	ds_write2_b32 v58, v6, v13 offset0:144 offset1:244
	v_lshlrev_b32_e32 v6, 2, v24
	v_fmac_f32_e32 v23, 0xbe9e377a, v36
	v_add3_u32 v4, 0, v4, v6
	v_add_f32_e32 v20, v59, v19
	v_add_f32_e32 v22, v61, v21
	;; [unrolled: 1-line block ×5, first 2 shown]
	v_sub_f32_e32 v19, v59, v19
	v_sub_f32_e32 v7, v7, v23
	;; [unrolled: 1-line block ×4, first 2 shown]
	v_add_u32_e32 v57, 0x200, v56
	v_add_u32_e32 v59, 0x800, v56
	v_add_u32_e32 v60, 0xc00, v56
	v_add_u32_e32 v24, 0x200, v4
	v_sub_f32_e32 v21, v61, v21
	ds_write2_b32 v56, v16, v17 offset1:100
	ds_write2_b32 v57, v14, v15 offset0:72 offset1:172
	ds_write2_b32 v59, v11, v12 offset0:88 offset1:188
	;; [unrolled: 1-line block ×4, first 2 shown]
	v_add_u32_e32 v61, 0x400, v4
	v_add_u32_e32 v62, 0x800, v4
	;; [unrolled: 1-line block ×3, first 2 shown]
	ds_write2_b32 v4, v18, v20 offset1:100
	ds_write2_b32 v61, v65, v67 offset0:144 offset1:244
	ds_write2_b32 v62, v19, v21 offset0:88 offset1:188
	;; [unrolled: 1-line block ×3, first 2 shown]
	s_waitcnt lgkmcnt(0)
	s_barrier
	ds_read2_b32 v[6:7], v1 offset1:200
	ds_read2_b32 v[8:9], v47 offset0:32 offset1:232
	ds_read2_b32 v[12:13], v44 offset0:16 offset1:216
	;; [unrolled: 1-line block ×4, first 2 shown]
	ds_read2_b32 v[14:15], v46 offset1:200
	ds_read2_b32 v[18:19], v49 offset0:32 offset1:232
	v_lshl_add_u32 v55, v0, 2, 0
	ds_read_b32 v27, v1 offset:1600
	ds_read_b32 v54, v55 offset:2400
	ds_read2_b32 v[22:23], v48 offset1:200
	ds_read2_b32 v[20:21], v51 offset0:16 offset1:216
	s_waitcnt lgkmcnt(0)
	s_barrier
	ds_write2_b32 v56, v34, v35 offset1:100
	ds_write2_b32 v57, v32, v33 offset0:72 offset1:172
	ds_write2_b32 v58, v28, v31 offset0:144 offset1:244
	;; [unrolled: 1-line block ×4, first 2 shown]
	ds_write2_b32 v4, v39, v41 offset1:100
	ds_write2_b32 v24, v38, v37 offset0:72 offset1:172
	ds_write2_b32 v61, v36, v40 offset0:144 offset1:244
	;; [unrolled: 1-line block ×4, first 2 shown]
	s_waitcnt lgkmcnt(0)
	s_barrier
	s_and_saveexec_b64 s[4:5], s[0:1]
	s_cbranch_execz .LBB0_13
; %bb.12:
	v_add_u32_e32 v24, 0x320, v0
	v_mul_u32_u24_e32 v4, 3, v24
	v_lshlrev_b32_e32 v4, 3, v4
	v_mov_b32_e32 v64, s9
	v_add_co_u32_e32 v4, vcc, s8, v4
	v_addc_co_u32_e32 v26, vcc, 0, v64, vcc
	v_add_co_u32_e32 v25, vcc, 0x1ef0, v4
	s_mov_b64 s[0:1], vcc
	v_add_co_u32_e32 v28, vcc, 0x1000, v4
	v_mov_b32_e32 v4, 0xfffffda8
	v_mad_u32_u24 v4, v24, 3, v4
	v_lshlrev_b64 v[32:33], 3, v[4:5]
	v_addc_co_u32_e32 v29, vcc, 0, v26, vcc
	v_add_co_u32_e32 v4, vcc, s8, v32
	s_movk_i32 s4, 0x1000
	v_addc_co_u32_e32 v37, vcc, v64, v33, vcc
	v_add_co_u32_e32 v32, vcc, s4, v4
	v_addc_co_u32_e32 v33, vcc, 0, v37, vcc
	v_addc_co_u32_e64 v26, vcc, 0, v26, s[0:1]
	global_load_dwordx4 v[28:31], v[28:29], off offset:3824
	s_movk_i32 s0, 0x1ef0
	global_load_dwordx2 v[25:26], v[25:26], off offset:16
	v_add_co_u32_e32 v36, vcc, s0, v4
	global_load_dwordx4 v[32:35], v[32:33], off offset:3824
	v_mov_b32_e32 v4, 0xfffffb50
	v_addc_co_u32_e32 v37, vcc, 0, v37, vcc
	global_load_dwordx2 v[40:41], v[36:37], off offset:16
	v_mad_u32_u24 v4, v24, 3, v4
	v_lshlrev_b64 v[36:37], 3, v[4:5]
	ds_read2_b32 v[42:43], v47 offset0:32 offset1:232
	ds_read2_b32 v[52:53], v50 offset0:48 offset1:248
	ds_read2_b32 v[47:48], v48 offset1:200
	ds_read2_b32 v[50:51], v51 offset0:16 offset1:216
	ds_read2_b32 v[56:57], v49 offset0:32 offset1:232
	ds_read_b32 v55, v55 offset:2400
	ds_read_b32 v68, v1 offset:1600
	v_add_co_u32_e32 v4, vcc, s8, v36
	v_addc_co_u32_e32 v36, vcc, v64, v37, vcc
	v_add_co_u32_e32 v58, vcc, s0, v4
	v_addc_co_u32_e32 v59, vcc, 0, v36, vcc
	;; [unrolled: 2-line block ×3, first 2 shown]
	global_load_dwordx4 v[36:39], v[60:61], off offset:3824
	global_load_dwordx2 v[62:63], v[58:59], off offset:16
	ds_read2_b32 v[66:67], v45 offset0:48 offset1:248
	ds_read2_b32 v[45:46], v46 offset1:200
	s_movk_i32 s1, 0x5000
	s_mov_b32 s6, 0x10624dd3
	s_movk_i32 s5, 0x6000
	s_movk_i32 s7, 0xbb8
	s_waitcnt vmcnt(5)
	v_mul_f32_e32 v49, v10, v31
	v_mul_f32_e32 v58, v23, v28
	s_waitcnt vmcnt(4)
	v_mul_f32_e32 v59, v21, v25
	s_waitcnt lgkmcnt(7)
	v_mul_f32_e32 v31, v52, v31
	v_mul_f32_e32 v23, v23, v29
	s_waitcnt vmcnt(3)
	v_mul_f32_e32 v4, v19, v35
	v_mul_f32_e32 v21, v21, v26
	s_waitcnt lgkmcnt(4)
	v_fma_f32 v65, v57, v34, -v4
	v_fma_f32 v4, v52, v30, -v49
	v_fmac_f32_e32 v58, v48, v29
	v_fmac_f32_e32 v59, v51, v26
	;; [unrolled: 1-line block ×3, first 2 shown]
	v_fma_f32 v10, v48, v28, -v23
	v_fma_f32 v21, v51, v25, -v21
	v_sub_f32_e32 v4, v42, v4
	v_sub_f32_e32 v23, v58, v59
	;; [unrolled: 1-line block ×5, first 2 shown]
	v_fma_f32 v29, v42, 2.0, -v4
	v_fma_f32 v10, v10, 2.0, -v21
	;; [unrolled: 1-line block ×3, first 2 shown]
	v_mov_b32_e32 v4, 0xfffff8f8
	v_add_f32_e32 v25, v28, v21
	v_sub_f32_e32 v52, v29, v10
	v_mad_u32_u24 v4, v24, 3, v4
	v_fma_f32 v8, v8, 2.0, -v28
	v_fma_f32 v48, v28, 2.0, -v25
	;; [unrolled: 1-line block ×3, first 2 shown]
	v_lshlrev_b64 v[28:29], 3, v[4:5]
	v_fma_f32 v21, v58, 2.0, -v23
	v_sub_f32_e32 v51, v8, v21
	v_add_co_u32_e32 v4, vcc, s8, v28
	v_fma_f32 v58, v8, 2.0, -v51
	v_addc_co_u32_e32 v8, vcc, v64, v29, vcc
	v_add_co_u32_e32 v28, vcc, s4, v4
	v_addc_co_u32_e32 v29, vcc, 0, v8, vcc
	v_add_co_u32_e32 v60, vcc, s0, v4
	v_addc_co_u32_e32 v61, vcc, 0, v8, vcc
	global_load_dwordx4 v[28:31], v[28:29], off offset:3824
	v_mul_f32_e32 v42, v57, v35
	global_load_dwordx2 v[60:61], v[60:61], off offset:16
	v_mul_f32_e32 v8, v22, v32
	v_fmac_f32_e32 v42, v19, v34
	v_mul_f32_e32 v19, v22, v33
	v_mul_u32_u24_e32 v22, 3, v0
	v_lshlrev_b32_e32 v22, 3, v22
	v_add_co_u32_e32 v22, vcc, s8, v22
	v_fmac_f32_e32 v8, v47, v33
	v_fma_f32 v19, v47, v32, -v19
	v_addc_co_u32_e32 v47, vcc, 0, v64, vcc
	v_add_co_u32_e32 v32, vcc, s4, v22
	v_addc_co_u32_e32 v33, vcc, 0, v47, vcc
	v_add_co_u32_e32 v64, vcc, s0, v22
	s_waitcnt lgkmcnt(3)
	v_sub_f32_e32 v4, v55, v65
	global_load_dwordx4 v[32:35], v[32:33], off offset:3824
	v_addc_co_u32_e32 v65, vcc, 0, v47, vcc
	global_load_dwordx2 v[64:65], v[64:65], off offset:16
	s_waitcnt vmcnt(6)
	v_mul_f32_e32 v10, v20, v40
	v_fmac_f32_e32 v10, v50, v41
	v_mul_f32_e32 v20, v20, v41
	v_sub_f32_e32 v10, v8, v10
	v_fma_f32 v20, v50, v40, -v20
	v_sub_f32_e32 v21, v4, v10
	v_sub_f32_e32 v40, v19, v20
	v_fma_f32 v23, v4, 2.0, -v21
	v_fma_f32 v4, v55, 2.0, -v4
	;; [unrolled: 1-line block ×3, first 2 shown]
	v_sub_f32_e32 v42, v54, v42
	v_sub_f32_e32 v41, v4, v19
	v_fma_f32 v55, v4, 2.0, -v41
	v_fma_f32 v4, v54, 2.0, -v42
	;; [unrolled: 1-line block ×3, first 2 shown]
	v_add_f32_e32 v20, v42, v40
	v_sub_f32_e32 v40, v4, v8
	v_fma_f32 v54, v4, 2.0, -v40
	s_waitcnt vmcnt(5)
	v_mul_f32_e32 v4, v18, v39
	v_mul_f32_e32 v8, v17, v36
	s_waitcnt vmcnt(4)
	v_mul_f32_e32 v10, v15, v62
	v_fma_f32 v4, v56, v38, -v4
	s_waitcnt lgkmcnt(1)
	v_fmac_f32_e32 v8, v67, v37
	s_waitcnt lgkmcnt(0)
	v_fmac_f32_e32 v10, v46, v63
	v_mul_f32_e32 v39, v56, v39
	v_mul_f32_e32 v17, v17, v37
	;; [unrolled: 1-line block ×3, first 2 shown]
	v_sub_f32_e32 v4, v68, v4
	v_sub_f32_e32 v10, v8, v10
	v_fmac_f32_e32 v39, v18, v38
	v_fma_f32 v17, v67, v36, -v17
	v_fma_f32 v15, v46, v62, -v15
	v_sub_f32_e32 v19, v4, v10
	v_sub_f32_e32 v38, v27, v39
	;; [unrolled: 1-line block ×3, first 2 shown]
	v_fma_f32 v47, v4, 2.0, -v19
	v_add_f32_e32 v18, v38, v15
	v_fma_f32 v4, v68, 2.0, -v4
	v_fma_f32 v15, v17, 2.0, -v15
	v_sub_f32_e32 v37, v4, v15
	v_fma_f32 v39, v4, 2.0, -v37
	v_fma_f32 v4, v27, 2.0, -v38
	;; [unrolled: 1-line block ×3, first 2 shown]
	ds_read2_b32 v[56:57], v44 offset0:16 offset1:216
	ds_read2_b32 v[62:63], v1 offset1:200
	v_sub_f32_e32 v36, v4, v8
	v_fma_f32 v46, v38, 2.0, -v18
	v_fma_f32 v38, v4, 2.0, -v36
	s_movk_i32 s0, 0x3000
	v_fma_f32 v22, v42, 2.0, -v20
	s_waitcnt vmcnt(3)
	v_mul_f32_e32 v4, v16, v28
	v_fmac_f32_e32 v4, v66, v29
	s_waitcnt vmcnt(2)
	v_mul_f32_e32 v8, v14, v60
	v_fmac_f32_e32 v8, v45, v61
	v_sub_f32_e32 v10, v4, v8
	s_waitcnt lgkmcnt(1)
	v_mul_f32_e32 v8, v57, v31
	v_mul_f32_e32 v1, v13, v31
	v_fmac_f32_e32 v8, v13, v30
	v_fma_f32 v1, v57, v30, -v1
	v_sub_f32_e32 v13, v7, v8
	v_mul_f32_e32 v8, v16, v29
	v_mul_f32_e32 v14, v14, v61
	s_waitcnt lgkmcnt(0)
	v_sub_f32_e32 v1, v63, v1
	v_fma_f32 v8, v66, v28, -v8
	v_fma_f32 v14, v45, v60, -v14
	v_sub_f32_e32 v15, v1, v10
	v_sub_f32_e32 v27, v8, v14
	v_fma_f32 v17, v1, 2.0, -v15
	v_fma_f32 v1, v63, 2.0, -v1
	;; [unrolled: 1-line block ×3, first 2 shown]
	v_sub_f32_e32 v8, v1, v8
	v_fma_f32 v28, v1, 2.0, -v8
	v_fma_f32 v1, v7, 2.0, -v13
	;; [unrolled: 1-line block ×3, first 2 shown]
	v_sub_f32_e32 v7, v1, v4
	s_waitcnt vmcnt(1)
	v_mul_f32_e32 v30, v56, v35
	v_add_f32_e32 v14, v13, v27
	v_fma_f32 v27, v1, 2.0, -v7
	v_mul_f32_e32 v1, v12, v35
	v_mul_f32_e32 v4, v9, v32
	s_waitcnt vmcnt(0)
	v_mul_f32_e32 v10, v11, v64
	v_fmac_f32_e32 v30, v12, v34
	v_mul_f32_e32 v9, v9, v33
	v_fma_f32 v1, v56, v34, -v1
	v_fmac_f32_e32 v4, v43, v33
	v_fmac_f32_e32 v10, v53, v65
	v_sub_f32_e32 v31, v6, v30
	v_fma_f32 v30, v43, v32, -v9
	v_mul_f32_e32 v9, v11, v65
	v_sub_f32_e32 v1, v62, v1
	v_sub_f32_e32 v29, v4, v10
	v_fma_f32 v9, v53, v64, -v9
	v_sub_f32_e32 v10, v1, v29
	v_sub_f32_e32 v11, v30, v9
	v_fma_f32 v16, v13, 2.0, -v14
	v_fma_f32 v13, v1, 2.0, -v10
	v_add_f32_e32 v9, v31, v11
	v_fma_f32 v1, v62, 2.0, -v1
	v_fma_f32 v11, v30, 2.0, -v11
	v_sub_f32_e32 v30, v1, v11
	v_fma_f32 v32, v1, 2.0, -v30
	v_fma_f32 v1, v6, 2.0, -v31
	;; [unrolled: 1-line block ×3, first 2 shown]
	v_sub_f32_e32 v29, v1, v4
	v_fma_f32 v12, v31, 2.0, -v9
	v_fma_f32 v31, v1, 2.0, -v29
	v_mov_b32_e32 v1, v5
	v_mov_b32_e32 v4, s3
	v_add_co_u32_e32 v6, vcc, s2, v2
	v_lshlrev_b64 v[1:2], 3, v[0:1]
	v_addc_co_u32_e32 v11, vcc, v4, v3, vcc
	v_add_co_u32_e32 v1, vcc, v6, v1
	v_addc_co_u32_e32 v2, vcc, v11, v2, vcc
	v_add_co_u32_e32 v3, vcc, s4, v1
	v_addc_co_u32_e32 v4, vcc, 0, v2, vcc
	global_store_dwordx2 v[3:4], v[12:13], off offset:3904
	v_add_co_u32_e32 v3, vcc, s0, v1
	v_addc_co_u32_e32 v4, vcc, 0, v2, vcc
	global_store_dwordx2 v[3:4], v[29:30], off offset:3712
	v_add_co_u32_e32 v3, vcc, s1, v1
	v_addc_co_u32_e32 v4, vcc, 0, v2, vcc
	s_movk_i32 s2, 0x2000
	global_store_dwordx2 v[1:2], v[31:32], off
	global_store_dwordx2 v[3:4], v[9:10], off offset:3520
	global_store_dwordx2 v[1:2], v[27:28], off offset:1600
	v_add_co_u32_e32 v3, vcc, s2, v1
	v_addc_co_u32_e32 v4, vcc, 0, v2, vcc
	s_movk_i32 s3, 0x4000
	global_store_dwordx2 v[3:4], v[16:17], off offset:1408
	v_add_co_u32_e32 v3, vcc, s3, v1
	v_addc_co_u32_e32 v4, vcc, 0, v2, vcc
	global_store_dwordx2 v[3:4], v[7:8], off offset:1216
	v_add_u32_e32 v3, 0x190, v0
	v_mul_hi_u32 v7, v3, s6
	v_add_co_u32_e32 v3, vcc, s5, v1
	v_addc_co_u32_e32 v4, vcc, 0, v2, vcc
	global_store_dwordx2 v[3:4], v[14:15], off offset:1024
	v_lshrrev_b32_e32 v3, 6, v7
	v_mul_u32_u24_e32 v4, 0xbb8, v3
	v_lshlrev_b64 v[3:4], 3, v[4:5]
	v_add_co_u32_e32 v1, vcc, v1, v3
	v_addc_co_u32_e32 v2, vcc, v2, v4, vcc
	v_add_co_u32_e32 v3, vcc, s2, v1
	v_addc_co_u32_e32 v4, vcc, 0, v2, vcc
	global_store_dwordx2 v[3:4], v[46:47], off offset:3008
	v_add_co_u32_e32 v3, vcc, s3, v1
	v_addc_co_u32_e32 v4, vcc, 0, v2, vcc
	global_store_dwordx2 v[3:4], v[36:37], off offset:2816
	v_add_u32_e32 v3, 0x258, v0
	v_mul_hi_u32 v4, v3, s6
	v_add_co_u32_e32 v0, vcc, s5, v1
	global_store_dwordx2 v[1:2], v[38:39], off offset:3200
	v_addc_co_u32_e32 v1, vcc, 0, v2, vcc
	global_store_dwordx2 v[0:1], v[18:19], off offset:2624
	v_lshrrev_b32_e32 v0, 6, v4
	v_mad_u32_u24 v4, v0, s7, v3
	v_lshlrev_b64 v[0:1], 3, v[4:5]
	v_add_co_u32_e32 v0, vcc, v6, v0
	v_addc_co_u32_e32 v1, vcc, v11, v1, vcc
	v_add_co_u32_e32 v2, vcc, s4, v0
	v_addc_co_u32_e32 v3, vcc, 0, v1, vcc
	global_store_dwordx2 v[2:3], v[22:23], off offset:3904
	v_add_co_u32_e32 v2, vcc, s0, v0
	v_addc_co_u32_e32 v3, vcc, 0, v1, vcc
	global_store_dwordx2 v[2:3], v[40:41], off offset:3712
	v_mul_hi_u32 v2, v24, s6
	global_store_dwordx2 v[0:1], v[54:55], off
	v_add_co_u32_e32 v0, vcc, s1, v0
	v_addc_co_u32_e32 v1, vcc, 0, v1, vcc
	global_store_dwordx2 v[0:1], v[20:21], off offset:3520
	v_lshrrev_b32_e32 v0, 6, v2
	v_mad_u32_u24 v4, v0, s7, v24
	v_lshlrev_b64 v[0:1], 3, v[4:5]
	v_add_co_u32_e32 v0, vcc, v6, v0
	v_addc_co_u32_e32 v1, vcc, v11, v1, vcc
	v_add_co_u32_e32 v2, vcc, s4, v0
	v_addc_co_u32_e32 v3, vcc, 0, v1, vcc
	global_store_dwordx2 v[2:3], v[48:49], off offset:3904
	v_add_co_u32_e32 v2, vcc, 0x3000, v0
	v_addc_co_u32_e32 v3, vcc, 0, v1, vcc
	global_store_dwordx2 v[0:1], v[58:59], off
	v_add_co_u32_e32 v0, vcc, 0x5000, v0
	v_addc_co_u32_e32 v1, vcc, 0, v1, vcc
	global_store_dwordx2 v[2:3], v[51:52], off offset:3712
	global_store_dwordx2 v[0:1], v[25:26], off offset:3520
.LBB0_13:
	s_endpgm
	.section	.rodata,"a",@progbits
	.p2align	6, 0x0
	.amdhsa_kernel fft_rtc_back_len4000_factors_10_10_10_4_wgs_200_tpt_200_halfLds_sp_ip_CI_unitstride_sbrr_dirReg
		.amdhsa_group_segment_fixed_size 0
		.amdhsa_private_segment_fixed_size 0
		.amdhsa_kernarg_size 88
		.amdhsa_user_sgpr_count 6
		.amdhsa_user_sgpr_private_segment_buffer 1
		.amdhsa_user_sgpr_dispatch_ptr 0
		.amdhsa_user_sgpr_queue_ptr 0
		.amdhsa_user_sgpr_kernarg_segment_ptr 1
		.amdhsa_user_sgpr_dispatch_id 0
		.amdhsa_user_sgpr_flat_scratch_init 0
		.amdhsa_user_sgpr_private_segment_size 0
		.amdhsa_uses_dynamic_stack 0
		.amdhsa_system_sgpr_private_segment_wavefront_offset 0
		.amdhsa_system_sgpr_workgroup_id_x 1
		.amdhsa_system_sgpr_workgroup_id_y 0
		.amdhsa_system_sgpr_workgroup_id_z 0
		.amdhsa_system_sgpr_workgroup_info 0
		.amdhsa_system_vgpr_workitem_id 0
		.amdhsa_next_free_vgpr 86
		.amdhsa_next_free_sgpr 22
		.amdhsa_reserve_vcc 1
		.amdhsa_reserve_flat_scratch 0
		.amdhsa_float_round_mode_32 0
		.amdhsa_float_round_mode_16_64 0
		.amdhsa_float_denorm_mode_32 3
		.amdhsa_float_denorm_mode_16_64 3
		.amdhsa_dx10_clamp 1
		.amdhsa_ieee_mode 1
		.amdhsa_fp16_overflow 0
		.amdhsa_exception_fp_ieee_invalid_op 0
		.amdhsa_exception_fp_denorm_src 0
		.amdhsa_exception_fp_ieee_div_zero 0
		.amdhsa_exception_fp_ieee_overflow 0
		.amdhsa_exception_fp_ieee_underflow 0
		.amdhsa_exception_fp_ieee_inexact 0
		.amdhsa_exception_int_div_zero 0
	.end_amdhsa_kernel
	.text
.Lfunc_end0:
	.size	fft_rtc_back_len4000_factors_10_10_10_4_wgs_200_tpt_200_halfLds_sp_ip_CI_unitstride_sbrr_dirReg, .Lfunc_end0-fft_rtc_back_len4000_factors_10_10_10_4_wgs_200_tpt_200_halfLds_sp_ip_CI_unitstride_sbrr_dirReg
                                        ; -- End function
	.section	.AMDGPU.csdata,"",@progbits
; Kernel info:
; codeLenInByte = 10924
; NumSgprs: 26
; NumVgprs: 86
; ScratchSize: 0
; MemoryBound: 0
; FloatMode: 240
; IeeeMode: 1
; LDSByteSize: 0 bytes/workgroup (compile time only)
; SGPRBlocks: 3
; VGPRBlocks: 21
; NumSGPRsForWavesPerEU: 26
; NumVGPRsForWavesPerEU: 86
; Occupancy: 2
; WaveLimiterHint : 1
; COMPUTE_PGM_RSRC2:SCRATCH_EN: 0
; COMPUTE_PGM_RSRC2:USER_SGPR: 6
; COMPUTE_PGM_RSRC2:TRAP_HANDLER: 0
; COMPUTE_PGM_RSRC2:TGID_X_EN: 1
; COMPUTE_PGM_RSRC2:TGID_Y_EN: 0
; COMPUTE_PGM_RSRC2:TGID_Z_EN: 0
; COMPUTE_PGM_RSRC2:TIDIG_COMP_CNT: 0
	.type	__hip_cuid_f1d5423dcda4c7ab,@object ; @__hip_cuid_f1d5423dcda4c7ab
	.section	.bss,"aw",@nobits
	.globl	__hip_cuid_f1d5423dcda4c7ab
__hip_cuid_f1d5423dcda4c7ab:
	.byte	0                               ; 0x0
	.size	__hip_cuid_f1d5423dcda4c7ab, 1

	.ident	"AMD clang version 19.0.0git (https://github.com/RadeonOpenCompute/llvm-project roc-6.4.0 25133 c7fe45cf4b819c5991fe208aaa96edf142730f1d)"
	.section	".note.GNU-stack","",@progbits
	.addrsig
	.addrsig_sym __hip_cuid_f1d5423dcda4c7ab
	.amdgpu_metadata
---
amdhsa.kernels:
  - .args:
      - .actual_access:  read_only
        .address_space:  global
        .offset:         0
        .size:           8
        .value_kind:     global_buffer
      - .offset:         8
        .size:           8
        .value_kind:     by_value
      - .actual_access:  read_only
        .address_space:  global
        .offset:         16
        .size:           8
        .value_kind:     global_buffer
      - .actual_access:  read_only
        .address_space:  global
        .offset:         24
        .size:           8
        .value_kind:     global_buffer
      - .offset:         32
        .size:           8
        .value_kind:     by_value
      - .actual_access:  read_only
        .address_space:  global
        .offset:         40
        .size:           8
        .value_kind:     global_buffer
      - .actual_access:  read_only
        .address_space:  global
        .offset:         48
        .size:           8
        .value_kind:     global_buffer
      - .offset:         56
        .size:           4
        .value_kind:     by_value
      - .actual_access:  read_only
        .address_space:  global
        .offset:         64
        .size:           8
        .value_kind:     global_buffer
      - .actual_access:  read_only
        .address_space:  global
        .offset:         72
        .size:           8
        .value_kind:     global_buffer
      - .address_space:  global
        .offset:         80
        .size:           8
        .value_kind:     global_buffer
    .group_segment_fixed_size: 0
    .kernarg_segment_align: 8
    .kernarg_segment_size: 88
    .language:       OpenCL C
    .language_version:
      - 2
      - 0
    .max_flat_workgroup_size: 200
    .name:           fft_rtc_back_len4000_factors_10_10_10_4_wgs_200_tpt_200_halfLds_sp_ip_CI_unitstride_sbrr_dirReg
    .private_segment_fixed_size: 0
    .sgpr_count:     26
    .sgpr_spill_count: 0
    .symbol:         fft_rtc_back_len4000_factors_10_10_10_4_wgs_200_tpt_200_halfLds_sp_ip_CI_unitstride_sbrr_dirReg.kd
    .uniform_work_group_size: 1
    .uses_dynamic_stack: false
    .vgpr_count:     86
    .vgpr_spill_count: 0
    .wavefront_size: 64
amdhsa.target:   amdgcn-amd-amdhsa--gfx906
amdhsa.version:
  - 1
  - 2
...

	.end_amdgpu_metadata
